;; amdgpu-corpus repo=ROCm/rocFFT kind=compiled arch=gfx950 opt=O3
	.text
	.amdgcn_target "amdgcn-amd-amdhsa--gfx950"
	.amdhsa_code_object_version 6
	.protected	bluestein_single_fwd_len195_dim1_dp_op_CI_CI ; -- Begin function bluestein_single_fwd_len195_dim1_dp_op_CI_CI
	.globl	bluestein_single_fwd_len195_dim1_dp_op_CI_CI
	.p2align	8
	.type	bluestein_single_fwd_len195_dim1_dp_op_CI_CI,@function
bluestein_single_fwd_len195_dim1_dp_op_CI_CI: ; @bluestein_single_fwd_len195_dim1_dp_op_CI_CI
; %bb.0:
	s_load_dwordx4 s[12:15], s[0:1], 0x28
	v_mul_u32_u24_e32 v1, 0x13b2, v0
	v_lshrrev_b32_e32 v2, 16, v1
	v_mov_b32_e32 v233, 0
	v_lshl_add_u32 v236, s2, 2, v2
	v_mov_b32_e32 v237, v233
	s_waitcnt lgkmcnt(0)
	v_cmp_gt_u64_e32 vcc, s[12:13], v[236:237]
	s_and_saveexec_b64 s[2:3], vcc
	s_cbranch_execz .LBB0_15
; %bb.1:
	s_load_dwordx4 s[4:7], s[0:1], 0x18
	s_load_dwordx2 s[12:13], s[0:1], 0x0
	v_mul_lo_u16_e32 v1, 13, v2
	v_sub_u16_e32 v232, v0, v1
	v_mov_b32_e32 v4, s14
	s_waitcnt lgkmcnt(0)
	s_load_dwordx4 s[8:11], s[4:5], 0x0
	v_mov_b32_e32 v5, s15
	v_mov_b32_e32 v3, 0xf0
	v_lshlrev_b32_e32 v74, 4, v232
	global_load_dwordx4 v[48:51], v74, s[12:13]
	s_waitcnt lgkmcnt(0)
	v_mad_u64_u32 v[0:1], s[2:3], s10, v236, 0
	v_mov_b32_e32 v6, v1
	v_mad_u64_u32 v[6:7], s[2:3], s11, v236, v[6:7]
	v_mov_b32_e32 v1, v6
	;; [unrolled: 2-line block ×4, first 2 shown]
	v_lshl_add_u64 v[72:73], v[0:1], 4, v[4:5]
	v_lshl_add_u64 v[0:1], v[6:7], 4, v[72:73]
	global_load_dwordx4 v[52:55], v[0:1], off
	v_mad_u64_u32 v[0:1], s[2:3], s8, v3, v[0:1]
	s_mul_i32 s2, s9, 0xf0
	s_nop 0
	v_add_u32_e32 v1, s2, v1
	global_load_dwordx4 v[108:111], v74, s[12:13] offset:240
	global_load_dwordx4 v[56:59], v[0:1], off
	v_mad_u64_u32 v[0:1], s[4:5], s8, v3, v[0:1]
	v_add_u32_e32 v1, s2, v1
	global_load_dwordx4 v[60:63], v[0:1], off
	global_load_dwordx4 v[20:23], v74, s[12:13] offset:480
	v_mad_u64_u32 v[0:1], s[4:5], s8, v3, v[0:1]
	v_add_u32_e32 v1, s2, v1
	global_load_dwordx4 v[112:115], v74, s[12:13] offset:720
	global_load_dwordx4 v[64:67], v[0:1], off
	v_mad_u64_u32 v[0:1], s[4:5], s8, v3, v[0:1]
	v_add_u32_e32 v1, s2, v1
	global_load_dwordx4 v[68:71], v[0:1], off
	global_load_dwordx4 v[24:27], v74, s[12:13] offset:960
	v_mad_u64_u32 v[0:1], s[4:5], s8, v3, v[0:1]
	v_add_u32_e32 v1, s2, v1
	global_load_dwordx4 v[4:7], v[0:1], off
	global_load_dwordx4 v[44:47], v74, s[12:13] offset:1200
	;; [unrolled: 4-line block ×8, first 2 shown]
	v_mad_u64_u32 v[0:1], s[4:5], s8, v3, v[0:1]
	v_add_u32_e32 v1, s2, v1
	global_load_dwordx4 v[36:39], v74, s[12:13] offset:2880
	global_load_dwordx4 v[100:103], v[0:1], off
	v_and_b32_e32 v2, 3, v2
	v_mul_u32_u24_e32 v2, 0xc3, v2
	v_lshlrev_b32_e32 v2, 4, v2
	v_accvgpr_write_b32 a50, v2
	v_add_u32_e32 v237, v2, v74
	s_load_dwordx2 s[2:3], s[0:1], 0x38
	v_mov_b32_e32 v75, v233
	s_load_dwordx4 s[4:7], s[6:7], 0x0
	v_lshl_add_u64 v[234:235], s[12:13], 0, v[74:75]
	v_cmp_gt_u16_e32 vcc, 2, v232
	s_waitcnt vmcnt(24)
	v_mul_f64 v[104:105], v[54:55], v[50:51]
	v_mul_f64 v[2:3], v[52:53], v[50:51]
	v_fmac_f64_e32 v[104:105], v[52:53], v[48:49]
	v_fma_f64 v[106:107], v[54:55], v[48:49], -v[2:3]
	s_waitcnt vmcnt(23)
	v_accvgpr_write_b32 a42, v108
	s_waitcnt vmcnt(22)
	v_mul_f64 v[52:53], v[58:59], v[110:111]
	v_mul_f64 v[2:3], v[56:57], v[110:111]
	v_fmac_f64_e32 v[52:53], v[56:57], v[108:109]
	v_fma_f64 v[54:55], v[58:59], v[108:109], -v[2:3]
	ds_write_b128 v237, v[52:55] offset:240
	s_waitcnt vmcnt(20)
	v_mul_f64 v[52:53], v[62:63], v[22:23]
	v_mul_f64 v[2:3], v[60:61], v[22:23]
	v_fmac_f64_e32 v[52:53], v[60:61], v[20:21]
	v_fma_f64 v[54:55], v[62:63], v[20:21], -v[2:3]
	ds_write_b128 v237, v[52:55] offset:480
	s_waitcnt vmcnt(18)
	v_mul_f64 v[52:53], v[66:67], v[114:115]
	v_mul_f64 v[2:3], v[64:65], v[114:115]
	v_fmac_f64_e32 v[52:53], v[64:65], v[112:113]
	v_fma_f64 v[54:55], v[66:67], v[112:113], -v[2:3]
	s_waitcnt vmcnt(16)
	v_mul_f64 v[2:3], v[68:69], v[26:27]
	ds_write_b128 v237, v[52:55] offset:720
	v_fma_f64 v[54:55], v[70:71], v[24:25], -v[2:3]
	s_waitcnt vmcnt(14)
	v_mul_f64 v[2:3], v[6:7], v[46:47]
	v_fmac_f64_e32 v[2:3], v[4:5], v[44:45]
	v_mul_f64 v[4:5], v[4:5], v[46:47]
	v_fma_f64 v[4:5], v[6:7], v[44:45], -v[4:5]
	ds_write_b128 v237, v[2:5] offset:1200
	s_waitcnt vmcnt(12)
	v_mul_f64 v[2:3], v[78:79], v[18:19]
	v_mul_f64 v[4:5], v[76:77], v[18:19]
	v_fmac_f64_e32 v[2:3], v[76:77], v[16:17]
	v_fma_f64 v[4:5], v[78:79], v[16:17], -v[4:5]
	ds_write_b128 v237, v[2:5] offset:1440
	s_waitcnt vmcnt(10)
	v_mul_f64 v[2:3], v[82:83], v[42:43]
	v_mul_f64 v[4:5], v[80:81], v[42:43]
	v_fmac_f64_e32 v[2:3], v[80:81], v[40:41]
	;; [unrolled: 6-line block ×7, first 2 shown]
	v_fma_f64 v[4:5], v[102:103], v[36:37], -v[4:5]
	ds_write_b128 v237, v[2:5] offset:2880
	v_or_b32_e32 v2, 28, v232
	v_accvgpr_write_b32 a14, v20
	v_accvgpr_write_b32 a46, v112
	v_mul_f64 v[52:53], v[70:71], v[26:27]
	v_accvgpr_write_b32 a18, v24
	v_accvgpr_write_b32 a38, v44
	;; [unrolled: 1-line block ×10, first 2 shown]
	v_or_b32_e32 v2, 58, v232
	v_accvgpr_write_b32 a43, v109
	v_accvgpr_write_b32 a44, v110
	;; [unrolled: 1-line block ×9, first 2 shown]
	v_fmac_f64_e32 v[52:53], v[68:69], v[24:25]
	v_accvgpr_write_b32 a19, v25
	v_accvgpr_write_b32 a20, v26
	;; [unrolled: 1-line block ×28, first 2 shown]
	ds_write_b128 v237, v[104:107]
	ds_write_b128 v237, v[52:55] offset:960
	s_and_saveexec_b64 s[10:11], vcc
	s_cbranch_execz .LBB0_3
; %bb.2:
	v_mov_b32_e32 v2, 0xfffff590
	v_mad_u64_u32 v[8:9], s[14:15], s8, v2, v[0:1]
	s_mul_i32 s14, s9, 0xfffff590
	s_sub_i32 s14, s14, s8
	v_add_u32_e32 v9, s14, v9
	global_load_dwordx4 v[0:3], v[8:9], off
	global_load_dwordx4 v[4:7], v[234:235], off offset:208
	v_mov_b32_e32 v12, 0x1e0
	v_mad_u64_u32 v[8:9], s[14:15], s8, v12, v[8:9]
	s_waitcnt vmcnt(0)
	v_mul_f64 v[52:53], v[2:3], v[6:7]
	v_fmac_f64_e32 v[52:53], v[0:1], v[4:5]
	v_mul_f64 v[0:1], v[0:1], v[6:7]
	v_fma_f64 v[54:55], v[2:3], v[4:5], -v[0:1]
	v_accvgpr_read_b32 v3, a1
	v_mad_u64_u32 v[0:1], s[14:15], s8, v3, 0
	v_mov_b32_e32 v2, v1
	v_mad_u64_u32 v[2:3], s[14:15], s9, v3, v[2:3]
	v_mov_b32_e32 v1, v2
	ds_write_b128 v237, v[52:55] offset:208
	v_lshl_add_u64 v[10:11], v[0:1], 4, v[72:73]
	global_load_dwordx4 v[0:3], v[10:11], off
	global_load_dwordx4 v[4:7], v[234:235], off offset:448
	s_mul_i32 s14, s9, 0x1e0
	v_add_u32_e32 v9, s14, v9
	s_waitcnt vmcnt(0)
	v_mul_f64 v[52:53], v[2:3], v[6:7]
	v_fmac_f64_e32 v[52:53], v[0:1], v[4:5]
	v_mul_f64 v[0:1], v[0:1], v[6:7]
	v_fma_f64 v[54:55], v[2:3], v[4:5], -v[0:1]
	ds_write_b128 v237, v[52:55] offset:448
	global_load_dwordx4 v[0:3], v[8:9], off
	global_load_dwordx4 v[4:7], v[234:235], off offset:688
	v_mad_u64_u32 v[8:9], s[16:17], s8, v12, v[8:9]
	v_add_u32_e32 v9, s14, v9
	s_waitcnt vmcnt(0)
	v_mul_f64 v[52:53], v[2:3], v[6:7]
	v_fmac_f64_e32 v[52:53], v[0:1], v[4:5]
	v_mul_f64 v[0:1], v[0:1], v[6:7]
	v_fma_f64 v[54:55], v[2:3], v[4:5], -v[0:1]
	v_accvgpr_read_b32 v3, a0
	v_mad_u64_u32 v[0:1], s[16:17], s8, v3, 0
	v_mov_b32_e32 v2, v1
	v_mad_u64_u32 v[2:3], s[16:17], s9, v3, v[2:3]
	v_mov_b32_e32 v1, v2
	ds_write_b128 v237, v[52:55] offset:688
	v_lshl_add_u64 v[10:11], v[0:1], 4, v[72:73]
	global_load_dwordx4 v[0:3], v[10:11], off
	global_load_dwordx4 v[4:7], v[234:235], off offset:928
	s_waitcnt vmcnt(0)
	v_mul_f64 v[52:53], v[2:3], v[6:7]
	v_fmac_f64_e32 v[52:53], v[0:1], v[4:5]
	v_mul_f64 v[0:1], v[0:1], v[6:7]
	v_fma_f64 v[54:55], v[2:3], v[4:5], -v[0:1]
	ds_write_b128 v237, v[52:55] offset:928
	global_load_dwordx4 v[0:3], v[8:9], off
	global_load_dwordx4 v[4:7], v[234:235], off offset:1168
	v_mad_u64_u32 v[8:9], s[16:17], s8, v12, v[8:9]
	v_add_u32_e32 v9, s14, v9
	s_waitcnt vmcnt(0)
	v_mul_f64 v[52:53], v[2:3], v[6:7]
	v_fmac_f64_e32 v[52:53], v[0:1], v[4:5]
	v_mul_f64 v[0:1], v[0:1], v[6:7]
	v_fma_f64 v[54:55], v[2:3], v[4:5], -v[0:1]
	v_or_b32_e32 v3, 0x58, v232
	v_mad_u64_u32 v[0:1], s[16:17], s8, v3, 0
	v_mov_b32_e32 v2, v1
	v_mad_u64_u32 v[2:3], s[16:17], s9, v3, v[2:3]
	v_mov_b32_e32 v1, v2
	ds_write_b128 v237, v[52:55] offset:1168
	v_lshl_add_u64 v[10:11], v[0:1], 4, v[72:73]
	global_load_dwordx4 v[0:3], v[10:11], off
	global_load_dwordx4 v[4:7], v[234:235], off offset:1408
	s_waitcnt vmcnt(0)
	v_mul_f64 v[52:53], v[2:3], v[6:7]
	v_fmac_f64_e32 v[52:53], v[0:1], v[4:5]
	v_mul_f64 v[0:1], v[0:1], v[6:7]
	v_fma_f64 v[54:55], v[2:3], v[4:5], -v[0:1]
	ds_write_b128 v237, v[52:55] offset:1408
	global_load_dwordx4 v[0:3], v[8:9], off
	global_load_dwordx4 v[4:7], v[234:235], off offset:1648
	v_mad_u64_u32 v[8:9], s[16:17], s8, v12, v[8:9]
	v_add_u32_e32 v9, s14, v9
	s_waitcnt vmcnt(0)
	v_mul_f64 v[52:53], v[2:3], v[6:7]
	v_fmac_f64_e32 v[52:53], v[0:1], v[4:5]
	v_mul_f64 v[0:1], v[0:1], v[6:7]
	v_fma_f64 v[54:55], v[2:3], v[4:5], -v[0:1]
	v_or_b32_e32 v3, 0x76, v232
	;; [unrolled: 24-line block ×3, first 2 shown]
	v_mad_u64_u32 v[0:1], s[16:17], s8, v3, 0
	v_mov_b32_e32 v2, v1
	v_mad_u64_u32 v[2:3], s[16:17], s9, v3, v[2:3]
	v_mov_b32_e32 v1, v2
	ds_write_b128 v237, v[52:55] offset:2128
	v_lshl_add_u64 v[10:11], v[0:1], 4, v[72:73]
	global_load_dwordx4 v[0:3], v[10:11], off
	global_load_dwordx4 v[4:7], v[234:235], off offset:2368
	s_waitcnt vmcnt(0)
	v_mul_f64 v[52:53], v[2:3], v[6:7]
	v_fmac_f64_e32 v[52:53], v[0:1], v[4:5]
	v_mul_f64 v[0:1], v[0:1], v[6:7]
	v_fma_f64 v[54:55], v[2:3], v[4:5], -v[0:1]
	ds_write_b128 v237, v[52:55] offset:2368
	global_load_dwordx4 v[0:3], v[8:9], off
	global_load_dwordx4 v[4:7], v[234:235], off offset:2608
	s_waitcnt vmcnt(0)
	v_mul_f64 v[52:53], v[2:3], v[6:7]
	v_fmac_f64_e32 v[52:53], v[0:1], v[4:5]
	v_mul_f64 v[0:1], v[0:1], v[6:7]
	v_fma_f64 v[54:55], v[2:3], v[4:5], -v[0:1]
	v_or_b32_e32 v3, 0xb2, v232
	v_mad_u64_u32 v[0:1], s[16:17], s8, v3, 0
	v_mov_b32_e32 v2, v1
	v_mad_u64_u32 v[2:3], s[16:17], s9, v3, v[2:3]
	v_mov_b32_e32 v1, v2
	ds_write_b128 v237, v[52:55] offset:2608
	v_lshl_add_u64 v[10:11], v[0:1], 4, v[72:73]
	global_load_dwordx4 v[0:3], v[10:11], off
	global_load_dwordx4 v[4:7], v[234:235], off offset:2848
	v_mad_u64_u32 v[8:9], s[8:9], s8, v12, v[8:9]
	v_add_u32_e32 v9, s14, v9
	s_waitcnt vmcnt(0)
	v_mul_f64 v[52:53], v[2:3], v[6:7]
	v_fmac_f64_e32 v[52:53], v[0:1], v[4:5]
	v_mul_f64 v[0:1], v[0:1], v[6:7]
	v_fma_f64 v[54:55], v[2:3], v[4:5], -v[0:1]
	ds_write_b128 v237, v[52:55] offset:2848
	global_load_dwordx4 v[0:3], v[8:9], off
	global_load_dwordx4 v[4:7], v[234:235], off offset:3088
	s_waitcnt vmcnt(0)
	v_mul_f64 v[52:53], v[2:3], v[6:7]
	v_fmac_f64_e32 v[52:53], v[0:1], v[4:5]
	v_mul_f64 v[0:1], v[0:1], v[6:7]
	v_fma_f64 v[54:55], v[2:3], v[4:5], -v[0:1]
	ds_write_b128 v237, v[52:55] offset:3088
.LBB0_3:
	s_or_b64 exec, exec, s[10:11]
	s_waitcnt lgkmcnt(0)
	; wave barrier
	s_waitcnt lgkmcnt(0)
	ds_read_b128 v[88:91], v237
	ds_read_b128 v[152:155], v237 offset:240
	ds_read_b128 v[84:87], v237 offset:480
	;; [unrolled: 1-line block ×12, first 2 shown]
	s_load_dwordx2 s[8:9], s[0:1], 0x8
                                        ; implicit-def: $vgpr96_vgpr97
                                        ; implicit-def: $vgpr100_vgpr101
                                        ; implicit-def: $vgpr104_vgpr105
                                        ; implicit-def: $vgpr108_vgpr109
                                        ; implicit-def: $vgpr112_vgpr113
                                        ; implicit-def: $vgpr116_vgpr117
                                        ; implicit-def: $vgpr120_vgpr121
                                        ; implicit-def: $vgpr124_vgpr125
                                        ; implicit-def: $vgpr128_vgpr129
                                        ; implicit-def: $vgpr132_vgpr133
                                        ; implicit-def: $vgpr136_vgpr137
                                        ; implicit-def: $vgpr140_vgpr141
                                        ; implicit-def: $vgpr144_vgpr145
	s_and_saveexec_b64 s[0:1], vcc
	s_cbranch_execz .LBB0_5
; %bb.4:
	ds_read_b128 v[96:99], v237 offset:208
	ds_read_b128 v[100:103], v237 offset:448
	;; [unrolled: 1-line block ×13, first 2 shown]
.LBB0_5:
	s_or_b64 exec, exec, s[0:1]
	s_waitcnt lgkmcnt(0)
	v_add_f64 v[0:1], v[88:89], v[152:153]
	v_add_f64 v[0:1], v[0:1], v[84:85]
	;; [unrolled: 1-line block ×18, first 2 shown]
	s_mov_b32 s46, 0x4267c47c
	s_mov_b32 s30, 0x42a4c3d2
	;; [unrolled: 1-line block ×6, first 2 shown]
	v_add_f64 v[2:3], v[2:3], v[74:75]
	v_add_f64 v[0:1], v[0:1], v[92:93]
	v_add_f64 v[6:7], v[154:155], -v[158:159]
	s_mov_b32 s47, 0xbfddbe06
	s_mov_b32 s31, 0xbfea55e2
	;; [unrolled: 1-line block ×7, first 2 shown]
	v_add_f64 v[2:3], v[2:3], v[82:83]
	v_add_f64 v[148:149], v[0:1], v[156:157]
	;; [unrolled: 1-line block ×3, first 2 shown]
	v_add_f64 v[4:5], v[152:153], -v[156:157]
	v_mul_f64 v[8:9], v[6:7], s[46:47]
	s_mov_b32 s0, 0xe00740e9
	v_mul_f64 v[16:17], v[6:7], s[30:31]
	s_mov_b32 s10, 0x1ea71119
	;; [unrolled: 2-line block ×6, first 2 shown]
	v_add_f64 v[2:3], v[2:3], v[94:95]
	s_mov_b32 s1, 0x3fec55a7
	s_mov_b32 s11, 0x3fe22d96
	;; [unrolled: 1-line block ×5, first 2 shown]
	v_fma_f64 v[180:181], v[0:1], s[20:21], -v[6:7]
	v_fmac_f64_e32 v[6:7], s[20:21], v[0:1]
	v_add_f64 v[150:151], v[2:3], v[158:159]
	v_add_f64 v[2:3], v[154:155], v[158:159]
	v_fma_f64 v[10:11], v[0:1], s[0:1], -v[8:9]
	v_mul_f64 v[12:13], v[4:5], s[46:47]
	v_fmac_f64_e32 v[8:9], s[0:1], v[0:1]
	v_fma_f64 v[18:19], v[0:1], s[10:11], -v[16:17]
	v_mul_f64 v[152:153], v[4:5], s[30:31]
	v_fmac_f64_e32 v[16:17], s[10:11], v[0:1]
	;; [unrolled: 3-line block ×5, first 2 shown]
	v_mul_f64 v[4:5], v[4:5], s[28:29]
	v_add_f64 v[0:1], v[88:89], v[6:7]
	v_add_f64 v[6:7], v[86:87], v[94:95]
	v_add_f64 v[86:87], v[86:87], -v[94:95]
	v_add_f64 v[10:11], v[88:89], v[10:11]
	v_fma_f64 v[14:15], s[0:1], v[2:3], v[12:13]
	v_add_f64 v[8:9], v[88:89], v[8:9]
	v_fma_f64 v[12:13], v[2:3], s[0:1], -v[12:13]
	v_add_f64 v[18:19], v[88:89], v[18:19]
	v_fma_f64 v[154:155], s[10:11], v[2:3], v[152:153]
	v_add_f64 v[16:17], v[88:89], v[16:17]
	v_fma_f64 v[152:153], v[2:3], s[10:11], -v[152:153]
	;; [unrolled: 4-line block ×5, first 2 shown]
	v_add_f64 v[180:181], v[88:89], v[180:181]
	v_fma_f64 v[182:183], s[20:21], v[2:3], v[4:5]
	v_fma_f64 v[2:3], v[2:3], s[20:21], -v[4:5]
	v_add_f64 v[4:5], v[84:85], v[92:93]
	v_mul_f64 v[88:89], v[86:87], s[30:31]
	v_add_f64 v[14:15], v[90:91], v[14:15]
	v_add_f64 v[12:13], v[90:91], v[12:13]
	;; [unrolled: 1-line block ×12, first 2 shown]
	v_add_f64 v[84:85], v[84:85], -v[92:93]
	v_fma_f64 v[90:91], v[4:5], s[10:11], -v[88:89]
	v_add_f64 v[10:11], v[90:91], v[10:11]
	v_mul_f64 v[90:91], v[84:85], s[30:31]
	v_fmac_f64_e32 v[88:89], s[10:11], v[4:5]
	v_add_f64 v[8:9], v[88:89], v[8:9]
	v_fma_f64 v[88:89], v[6:7], s[10:11], -v[90:91]
	v_add_f64 v[12:13], v[88:89], v[12:13]
	v_mul_f64 v[88:89], v[86:87], s[22:23]
	v_fma_f64 v[92:93], s[10:11], v[6:7], v[90:91]
	v_fma_f64 v[90:91], v[4:5], s[16:17], -v[88:89]
	v_add_f64 v[18:19], v[90:91], v[18:19]
	v_mul_f64 v[90:91], v[84:85], s[22:23]
	v_fmac_f64_e32 v[88:89], s[16:17], v[4:5]
	v_add_f64 v[14:15], v[92:93], v[14:15]
	v_fma_f64 v[92:93], s[16:17], v[6:7], v[90:91]
	v_add_f64 v[16:17], v[88:89], v[16:17]
	v_fma_f64 v[88:89], v[6:7], s[16:17], -v[90:91]
	v_mul_f64 v[90:91], v[86:87], s[28:29]
	v_add_f64 v[88:89], v[88:89], v[152:153]
	v_fma_f64 v[94:95], v[4:5], s[20:21], -v[90:91]
	v_mul_f64 v[152:153], v[84:85], s[28:29]
	v_fmac_f64_e32 v[90:91], s[20:21], v[4:5]
	s_mov_b32 s41, 0x3fe5384d
	s_mov_b32 s40, s26
	v_add_f64 v[92:93], v[92:93], v[154:155]
	v_fma_f64 v[154:155], s[20:21], v[6:7], v[152:153]
	v_add_f64 v[90:91], v[90:91], v[156:157]
	v_fma_f64 v[152:153], v[6:7], s[20:21], -v[152:153]
	v_mul_f64 v[156:157], v[86:87], s[40:41]
	v_add_f64 v[94:95], v[94:95], v[158:159]
	v_add_f64 v[152:153], v[152:153], v[160:161]
	v_fma_f64 v[158:159], v[4:5], s[18:19], -v[156:157]
	v_mul_f64 v[160:161], v[84:85], s[40:41]
	v_fmac_f64_e32 v[156:157], s[18:19], v[4:5]
	s_mov_b32 s25, 0x3fefc445
	s_mov_b32 s24, s38
	v_add_f64 v[154:155], v[154:155], v[162:163]
	v_fma_f64 v[162:163], s[18:19], v[6:7], v[160:161]
	v_add_f64 v[156:157], v[156:157], v[164:165]
	v_fma_f64 v[160:161], v[6:7], s[18:19], -v[160:161]
	v_mul_f64 v[164:165], v[86:87], s[24:25]
	s_mov_b32 s35, 0x3fddbe06
	s_mov_b32 s34, s46
	v_add_f64 v[158:159], v[158:159], v[166:167]
	v_add_f64 v[160:161], v[160:161], v[168:169]
	v_fma_f64 v[166:167], v[4:5], s[14:15], -v[164:165]
	v_mul_f64 v[168:169], v[84:85], s[24:25]
	v_fmac_f64_e32 v[164:165], s[14:15], v[4:5]
	v_mul_f64 v[86:87], v[86:87], s[34:35]
	v_mul_f64 v[84:85], v[84:85], s[34:35]
	v_add_f64 v[162:163], v[162:163], v[170:171]
	v_add_f64 v[166:167], v[166:167], v[174:175]
	v_fma_f64 v[170:171], s[14:15], v[6:7], v[168:169]
	v_add_f64 v[164:165], v[164:165], v[172:173]
	v_fma_f64 v[168:169], v[6:7], s[14:15], -v[168:169]
	v_fma_f64 v[172:173], v[4:5], s[0:1], -v[86:87]
	v_fma_f64 v[174:175], s[0:1], v[6:7], v[84:85]
	v_fmac_f64_e32 v[86:87], s[0:1], v[4:5]
	v_fma_f64 v[4:5], v[6:7], s[0:1], -v[84:85]
	v_add_f64 v[6:7], v[78:79], v[82:83]
	v_add_f64 v[78:79], v[78:79], -v[82:83]
	v_add_f64 v[2:3], v[4:5], v[2:3]
	v_add_f64 v[4:5], v[76:77], v[80:81]
	v_add_f64 v[76:77], v[76:77], -v[80:81]
	v_mul_f64 v[80:81], v[78:79], s[38:39]
	v_fma_f64 v[82:83], v[4:5], s[14:15], -v[80:81]
	v_add_f64 v[10:11], v[82:83], v[10:11]
	v_mul_f64 v[82:83], v[76:77], s[38:39]
	v_fmac_f64_e32 v[80:81], s[14:15], v[4:5]
	v_add_f64 v[8:9], v[80:81], v[8:9]
	v_fma_f64 v[80:81], v[6:7], s[14:15], -v[82:83]
	v_add_f64 v[12:13], v[80:81], v[12:13]
	v_mul_f64 v[80:81], v[78:79], s[28:29]
	v_fma_f64 v[84:85], s[14:15], v[6:7], v[82:83]
	v_fma_f64 v[82:83], v[4:5], s[20:21], -v[80:81]
	v_add_f64 v[18:19], v[82:83], v[18:19]
	v_mul_f64 v[82:83], v[76:77], s[28:29]
	v_fmac_f64_e32 v[80:81], s[20:21], v[4:5]
	s_mov_b32 s45, 0x3fedeba7
	s_mov_b32 s44, s22
	v_add_f64 v[14:15], v[84:85], v[14:15]
	v_fma_f64 v[84:85], s[20:21], v[6:7], v[82:83]
	v_add_f64 v[16:17], v[80:81], v[16:17]
	v_fma_f64 v[80:81], v[6:7], s[20:21], -v[82:83]
	v_mul_f64 v[82:83], v[78:79], s[44:45]
	v_add_f64 v[0:1], v[86:87], v[0:1]
	v_add_f64 v[80:81], v[80:81], v[88:89]
	v_fma_f64 v[86:87], v[4:5], s[16:17], -v[82:83]
	v_mul_f64 v[88:89], v[76:77], s[44:45]
	v_fmac_f64_e32 v[82:83], s[16:17], v[4:5]
	v_add_f64 v[84:85], v[84:85], v[92:93]
	v_fma_f64 v[92:93], s[16:17], v[6:7], v[88:89]
	v_add_f64 v[82:83], v[82:83], v[90:91]
	v_fma_f64 v[88:89], v[6:7], s[16:17], -v[88:89]
	v_mul_f64 v[90:91], v[78:79], s[34:35]
	v_add_f64 v[86:87], v[86:87], v[94:95]
	v_add_f64 v[88:89], v[88:89], v[152:153]
	v_fma_f64 v[94:95], v[4:5], s[0:1], -v[90:91]
	v_mul_f64 v[152:153], v[76:77], s[34:35]
	v_fmac_f64_e32 v[90:91], s[0:1], v[4:5]
	;; [unrolled: 10-line block ×3, first 2 shown]
	v_mul_f64 v[78:79], v[78:79], s[26:27]
	v_mul_f64 v[76:77], v[76:77], s[26:27]
	v_add_f64 v[154:155], v[154:155], v[162:163]
	v_add_f64 v[158:159], v[158:159], v[166:167]
	v_fma_f64 v[162:163], s[10:11], v[6:7], v[160:161]
	v_add_f64 v[156:157], v[156:157], v[164:165]
	v_fma_f64 v[160:161], v[6:7], s[10:11], -v[160:161]
	v_fma_f64 v[164:165], v[4:5], s[18:19], -v[78:79]
	v_fma_f64 v[166:167], s[18:19], v[6:7], v[76:77]
	v_fmac_f64_e32 v[78:79], s[18:19], v[4:5]
	v_fma_f64 v[4:5], v[6:7], s[18:19], -v[76:77]
	v_add_f64 v[6:7], v[70:71], v[74:75]
	v_add_f64 v[70:71], v[70:71], -v[74:75]
	v_add_f64 v[2:3], v[4:5], v[2:3]
	v_add_f64 v[4:5], v[68:69], v[72:73]
	v_add_f64 v[68:69], v[68:69], -v[72:73]
	v_mul_f64 v[72:73], v[70:71], s[22:23]
	v_fma_f64 v[74:75], v[4:5], s[16:17], -v[72:73]
	v_add_f64 v[10:11], v[74:75], v[10:11]
	v_mul_f64 v[74:75], v[68:69], s[22:23]
	v_fmac_f64_e32 v[72:73], s[16:17], v[4:5]
	v_add_f64 v[8:9], v[72:73], v[8:9]
	v_fma_f64 v[72:73], v[6:7], s[16:17], -v[74:75]
	v_add_f64 v[12:13], v[72:73], v[12:13]
	v_mul_f64 v[72:73], v[70:71], s[40:41]
	v_fma_f64 v[76:77], s[16:17], v[6:7], v[74:75]
	v_fma_f64 v[74:75], v[4:5], s[18:19], -v[72:73]
	v_add_f64 v[18:19], v[74:75], v[18:19]
	v_mul_f64 v[74:75], v[68:69], s[40:41]
	v_fmac_f64_e32 v[72:73], s[18:19], v[4:5]
	v_add_f64 v[14:15], v[76:77], v[14:15]
	v_fma_f64 v[76:77], s[18:19], v[6:7], v[74:75]
	v_add_f64 v[16:17], v[72:73], v[16:17]
	v_fma_f64 v[72:73], v[6:7], s[18:19], -v[74:75]
	v_mul_f64 v[74:75], v[70:71], s[34:35]
	v_add_f64 v[0:1], v[78:79], v[0:1]
	v_add_f64 v[72:73], v[72:73], v[80:81]
	v_fma_f64 v[78:79], v[4:5], s[0:1], -v[74:75]
	v_mul_f64 v[80:81], v[68:69], s[34:35]
	v_fmac_f64_e32 v[74:75], s[0:1], v[4:5]
	v_add_f64 v[76:77], v[76:77], v[84:85]
	v_fma_f64 v[84:85], s[0:1], v[6:7], v[80:81]
	v_add_f64 v[74:75], v[74:75], v[82:83]
	v_fma_f64 v[80:81], v[6:7], s[0:1], -v[80:81]
	v_mul_f64 v[82:83], v[70:71], s[38:39]
	v_add_f64 v[78:79], v[78:79], v[86:87]
	v_add_f64 v[80:81], v[80:81], v[88:89]
	v_fma_f64 v[86:87], v[4:5], s[14:15], -v[82:83]
	v_mul_f64 v[88:89], v[68:69], s[38:39]
	v_fmac_f64_e32 v[82:83], s[14:15], v[4:5]
	s_mov_b32 s43, 0x3fcea1e5
	s_mov_b32 s42, s28
	v_add_f64 v[84:85], v[84:85], v[92:93]
	v_fma_f64 v[92:93], s[14:15], v[6:7], v[88:89]
	v_add_f64 v[82:83], v[82:83], v[90:91]
	v_fma_f64 v[88:89], v[6:7], s[14:15], -v[88:89]
	v_mul_f64 v[90:91], v[70:71], s[42:43]
	s_mov_b32 s37, 0x3fea55e2
	s_mov_b32 s36, s30
	v_add_f64 v[86:87], v[86:87], v[94:95]
	v_add_f64 v[88:89], v[88:89], v[152:153]
	v_fma_f64 v[94:95], v[4:5], s[20:21], -v[90:91]
	v_mul_f64 v[152:153], v[68:69], s[42:43]
	v_fmac_f64_e32 v[90:91], s[20:21], v[4:5]
	v_mul_f64 v[70:71], v[70:71], s[36:37]
	v_mul_f64 v[68:69], v[68:69], s[36:37]
	v_add_f64 v[92:93], v[92:93], v[154:155]
	v_add_f64 v[94:95], v[94:95], v[158:159]
	v_fma_f64 v[154:155], s[20:21], v[6:7], v[152:153]
	v_add_f64 v[90:91], v[90:91], v[156:157]
	v_fma_f64 v[152:153], v[6:7], s[20:21], -v[152:153]
	v_fma_f64 v[156:157], v[4:5], s[10:11], -v[70:71]
	v_fma_f64 v[158:159], s[10:11], v[6:7], v[68:69]
	v_fmac_f64_e32 v[70:71], s[10:11], v[4:5]
	v_fma_f64 v[4:5], v[6:7], s[10:11], -v[68:69]
	v_add_f64 v[6:7], v[62:63], v[66:67]
	v_add_f64 v[62:63], v[62:63], -v[66:67]
	v_add_f64 v[2:3], v[4:5], v[2:3]
	v_add_f64 v[4:5], v[60:61], v[64:65]
	v_add_f64 v[60:61], v[60:61], -v[64:65]
	v_mul_f64 v[64:65], v[62:63], s[26:27]
	v_fma_f64 v[66:67], v[4:5], s[18:19], -v[64:65]
	v_add_f64 v[10:11], v[66:67], v[10:11]
	v_mul_f64 v[66:67], v[60:61], s[26:27]
	v_fmac_f64_e32 v[64:65], s[18:19], v[4:5]
	v_add_f64 v[8:9], v[64:65], v[8:9]
	v_fma_f64 v[64:65], v[6:7], s[18:19], -v[66:67]
	v_add_f64 v[12:13], v[64:65], v[12:13]
	v_mul_f64 v[64:65], v[62:63], s[24:25]
	v_fma_f64 v[68:69], s[18:19], v[6:7], v[66:67]
	v_fma_f64 v[66:67], v[4:5], s[14:15], -v[64:65]
	v_add_f64 v[18:19], v[66:67], v[18:19]
	v_mul_f64 v[66:67], v[60:61], s[24:25]
	v_fmac_f64_e32 v[64:65], s[14:15], v[4:5]
	v_add_f64 v[14:15], v[68:69], v[14:15]
	v_fma_f64 v[68:69], s[14:15], v[6:7], v[66:67]
	v_add_f64 v[16:17], v[64:65], v[16:17]
	v_fma_f64 v[64:65], v[6:7], s[14:15], -v[66:67]
	v_mul_f64 v[66:67], v[62:63], s[30:31]
	v_add_f64 v[0:1], v[70:71], v[0:1]
	v_add_f64 v[64:65], v[64:65], v[72:73]
	v_fma_f64 v[70:71], v[4:5], s[10:11], -v[66:67]
	v_mul_f64 v[72:73], v[60:61], s[30:31]
	v_fmac_f64_e32 v[66:67], s[10:11], v[4:5]
	v_add_f64 v[68:69], v[68:69], v[76:77]
	v_fma_f64 v[76:77], s[10:11], v[6:7], v[72:73]
	v_add_f64 v[66:67], v[66:67], v[74:75]
	v_fma_f64 v[72:73], v[6:7], s[10:11], -v[72:73]
	v_mul_f64 v[74:75], v[62:63], s[42:43]
	v_add_f64 v[70:71], v[70:71], v[78:79]
	v_add_f64 v[72:73], v[72:73], v[80:81]
	v_fma_f64 v[78:79], v[4:5], s[20:21], -v[74:75]
	;; [unrolled: 10-line block ×3, first 2 shown]
	v_mul_f64 v[88:89], v[60:61], s[34:35]
	v_fmac_f64_e32 v[82:83], s[0:1], v[4:5]
	v_mul_f64 v[62:63], v[62:63], s[22:23]
	v_mul_f64 v[60:61], v[60:61], s[22:23]
	v_add_f64 v[84:85], v[84:85], v[92:93]
	v_add_f64 v[86:87], v[86:87], v[94:95]
	v_fma_f64 v[92:93], s[0:1], v[6:7], v[88:89]
	v_add_f64 v[82:83], v[82:83], v[90:91]
	v_fma_f64 v[88:89], v[6:7], s[0:1], -v[88:89]
	v_fma_f64 v[90:91], v[4:5], s[16:17], -v[62:63]
	v_fma_f64 v[94:95], s[16:17], v[6:7], v[60:61]
	v_fmac_f64_e32 v[62:63], s[16:17], v[4:5]
	v_fma_f64 v[4:5], v[6:7], s[16:17], -v[60:61]
	v_add_f64 v[6:7], v[54:55], v[58:59]
	v_add_f64 v[54:55], v[54:55], -v[58:59]
	v_add_f64 v[168:169], v[168:169], v[176:177]
	v_add_f64 v[2:3], v[4:5], v[2:3]
	;; [unrolled: 1-line block ×3, first 2 shown]
	v_add_f64 v[52:53], v[52:53], -v[56:57]
	v_mul_f64 v[56:57], v[54:55], s[28:29]
	v_add_f64 v[170:171], v[170:171], v[178:179]
	v_add_f64 v[160:161], v[160:161], v[168:169]
	v_fma_f64 v[58:59], v[4:5], s[20:21], -v[56:57]
	v_add_f64 v[162:163], v[162:163], v[170:171]
	v_add_f64 v[152:153], v[152:153], v[160:161]
	;; [unrolled: 1-line block ×3, first 2 shown]
	v_mul_f64 v[10:11], v[52:53], s[28:29]
	v_fmac_f64_e32 v[56:57], s[20:21], v[4:5]
	v_add_f64 v[154:155], v[154:155], v[162:163]
	v_add_f64 v[88:89], v[88:89], v[152:153]
	;; [unrolled: 1-line block ×3, first 2 shown]
	v_fma_f64 v[8:9], v[6:7], s[20:21], -v[10:11]
	v_add_f64 v[172:173], v[172:173], v[180:181]
	v_add_f64 v[92:93], v[92:93], v[154:155]
	;; [unrolled: 1-line block ×3, first 2 shown]
	v_mul_f64 v[8:9], v[54:55], s[34:35]
	v_add_f64 v[174:175], v[174:175], v[182:183]
	v_add_f64 v[164:165], v[164:165], v[172:173]
	v_fma_f64 v[58:59], s[20:21], v[6:7], v[10:11]
	v_fma_f64 v[10:11], v[4:5], s[0:1], -v[8:9]
	v_add_f64 v[166:167], v[166:167], v[174:175]
	v_add_f64 v[156:157], v[156:157], v[164:165]
	;; [unrolled: 1-line block ×3, first 2 shown]
	v_mul_f64 v[10:11], v[52:53], s[34:35]
	v_fmac_f64_e32 v[8:9], s[0:1], v[4:5]
	v_add_f64 v[158:159], v[158:159], v[166:167]
	v_add_f64 v[90:91], v[90:91], v[156:157]
	v_add_f64 v[156:157], v[8:9], v[16:17]
	v_fma_f64 v[8:9], v[6:7], s[0:1], -v[10:11]
	v_add_f64 v[94:95], v[94:95], v[158:159]
	v_add_f64 v[158:159], v[8:9], v[64:65]
	v_mul_f64 v[8:9], v[54:55], s[26:27]
	v_fma_f64 v[12:13], s[0:1], v[6:7], v[10:11]
	v_fma_f64 v[10:11], v[4:5], s[18:19], -v[8:9]
	v_add_f64 v[176:177], v[10:11], v[70:71]
	v_mul_f64 v[10:11], v[52:53], s[26:27]
	v_fmac_f64_e32 v[8:9], s[18:19], v[4:5]
	v_add_f64 v[164:165], v[8:9], v[66:67]
	v_fma_f64 v[8:9], v[6:7], s[18:19], -v[10:11]
	v_add_f64 v[166:167], v[8:9], v[72:73]
	v_mul_f64 v[8:9], v[54:55], s[36:37]
	v_add_f64 v[170:171], v[12:13], v[68:69]
	v_fma_f64 v[12:13], s[18:19], v[6:7], v[10:11]
	v_fma_f64 v[10:11], v[4:5], s[10:11], -v[8:9]
	v_add_f64 v[180:181], v[10:11], v[78:79]
	v_mul_f64 v[10:11], v[52:53], s[36:37]
	v_fmac_f64_e32 v[8:9], s[10:11], v[4:5]
	v_add_f64 v[172:173], v[8:9], v[74:75]
	v_fma_f64 v[8:9], v[6:7], s[10:11], -v[10:11]
	v_add_f64 v[174:175], v[8:9], v[80:81]
	v_mul_f64 v[8:9], v[54:55], s[22:23]
	v_add_f64 v[178:179], v[12:13], v[76:77]
	;; [unrolled: 10-line block ×3, first 2 shown]
	v_fma_f64 v[12:13], s[16:17], v[6:7], v[10:11]
	v_fma_f64 v[10:11], v[4:5], s[14:15], -v[8:9]
	v_add_f64 v[0:1], v[62:63], v[0:1]
	v_add_f64 v[192:193], v[10:11], v[90:91]
	v_mul_f64 v[10:11], v[52:53], s[24:25]
	v_fmac_f64_e32 v[8:9], s[14:15], v[4:5]
	v_add_f64 v[196:197], v[8:9], v[0:1]
	v_fma_f64 v[0:1], v[6:7], s[14:15], -v[10:11]
	v_add_f64 v[198:199], v[0:1], v[2:3]
	v_add_f64 v[2:3], v[102:103], -v[146:147]
	v_add_f64 v[206:207], v[100:101], v[144:145]
	v_add_f64 v[0:1], v[100:101], -v[144:145]
	v_mul_f64 v[202:203], v[2:3], s[46:47]
	v_add_f64 v[78:79], v[106:107], -v[142:143]
	v_add_f64 v[208:209], v[102:103], v[146:147]
	v_mul_f64 v[204:205], v[0:1], s[46:47]
	v_fma_f64 v[4:5], s[0:1], v[206:207], v[202:203]
	v_add_f64 v[214:215], v[104:105], v[140:141]
	v_add_f64 v[76:77], v[104:105], -v[140:141]
	v_mul_f64 v[210:211], v[78:79], s[30:31]
	v_add_f64 v[190:191], v[12:13], v[92:93]
	v_fma_f64 v[12:13], s[14:15], v[6:7], v[10:11]
	v_add_f64 v[4:5], v[96:97], v[4:5]
	v_fma_f64 v[6:7], v[208:209], s[0:1], -v[204:205]
	v_add_f64 v[216:217], v[106:107], v[142:143]
	v_mul_f64 v[212:213], v[76:77], s[30:31]
	v_fma_f64 v[80:81], s[10:11], v[214:215], v[210:211]
	v_add_f64 v[6:7], v[98:99], v[6:7]
	v_mul_f64 v[8:9], v[2:3], s[30:31]
	v_add_f64 v[4:5], v[80:81], v[4:5]
	v_fma_f64 v[80:81], v[216:217], s[10:11], -v[212:213]
	v_fma_f64 v[10:11], v[206:207], s[10:11], -v[8:9]
	v_add_f64 v[6:7], v[80:81], v[6:7]
	v_mul_f64 v[80:81], v[78:79], s[22:23]
	v_add_f64 v[194:195], v[12:13], v[94:95]
	v_add_f64 v[10:11], v[96:97], v[10:11]
	v_mul_f64 v[12:13], v[0:1], s[30:31]
	v_fmac_f64_e32 v[8:9], s[10:11], v[206:207]
	v_fma_f64 v[82:83], v[214:215], s[16:17], -v[80:81]
	v_add_f64 v[162:163], v[58:59], v[14:15]
	v_fma_f64 v[14:15], s[10:11], v[208:209], v[12:13]
	v_add_f64 v[8:9], v[96:97], v[8:9]
	v_fma_f64 v[12:13], v[208:209], s[10:11], -v[12:13]
	v_add_f64 v[10:11], v[82:83], v[10:11]
	v_mul_f64 v[82:83], v[76:77], s[22:23]
	v_fmac_f64_e32 v[80:81], s[16:17], v[214:215]
	v_add_f64 v[12:13], v[98:99], v[12:13]
	v_mul_f64 v[16:17], v[2:3], s[38:39]
	v_add_f64 v[8:9], v[80:81], v[8:9]
	v_fma_f64 v[80:81], v[216:217], s[16:17], -v[82:83]
	v_fma_f64 v[18:19], v[206:207], s[14:15], -v[16:17]
	v_add_f64 v[12:13], v[80:81], v[12:13]
	v_mul_f64 v[80:81], v[78:79], s[28:29]
	v_add_f64 v[18:19], v[96:97], v[18:19]
	v_mul_f64 v[52:53], v[0:1], s[38:39]
	v_fmac_f64_e32 v[16:17], s[14:15], v[206:207]
	v_fma_f64 v[84:85], s[16:17], v[216:217], v[82:83]
	v_fma_f64 v[82:83], v[214:215], s[20:21], -v[80:81]
	v_fma_f64 v[54:55], s[14:15], v[208:209], v[52:53]
	v_add_f64 v[16:17], v[96:97], v[16:17]
	v_fma_f64 v[52:53], v[208:209], s[14:15], -v[52:53]
	v_add_f64 v[18:19], v[82:83], v[18:19]
	v_mul_f64 v[82:83], v[76:77], s[28:29]
	v_fmac_f64_e32 v[80:81], s[20:21], v[214:215]
	v_add_f64 v[52:53], v[98:99], v[52:53]
	v_mul_f64 v[56:57], v[2:3], s[22:23]
	v_add_f64 v[16:17], v[80:81], v[16:17]
	v_fma_f64 v[80:81], v[216:217], s[20:21], -v[82:83]
	v_add_f64 v[14:15], v[98:99], v[14:15]
	v_fma_f64 v[58:59], v[206:207], s[16:17], -v[56:57]
	v_add_f64 v[52:53], v[80:81], v[52:53]
	v_mul_f64 v[80:81], v[78:79], s[40:41]
	v_add_f64 v[58:59], v[96:97], v[58:59]
	v_mul_f64 v[60:61], v[0:1], s[22:23]
	v_fmac_f64_e32 v[56:57], s[16:17], v[206:207]
	v_add_f64 v[14:15], v[84:85], v[14:15]
	v_fma_f64 v[84:85], s[20:21], v[216:217], v[82:83]
	v_fma_f64 v[82:83], v[214:215], s[18:19], -v[80:81]
	v_fma_f64 v[62:63], s[16:17], v[208:209], v[60:61]
	v_add_f64 v[56:57], v[96:97], v[56:57]
	v_fma_f64 v[60:61], v[208:209], s[16:17], -v[60:61]
	v_add_f64 v[58:59], v[82:83], v[58:59]
	v_mul_f64 v[82:83], v[76:77], s[40:41]
	v_fmac_f64_e32 v[80:81], s[18:19], v[214:215]
	v_add_f64 v[60:61], v[98:99], v[60:61]
	v_mul_f64 v[64:65], v[2:3], s[26:27]
	v_add_f64 v[56:57], v[80:81], v[56:57]
	v_fma_f64 v[80:81], v[216:217], s[18:19], -v[82:83]
	v_add_f64 v[54:55], v[98:99], v[54:55]
	v_fma_f64 v[66:67], v[206:207], s[18:19], -v[64:65]
	v_add_f64 v[60:61], v[80:81], v[60:61]
	v_mul_f64 v[80:81], v[78:79], s[24:25]
	v_add_f64 v[66:67], v[96:97], v[66:67]
	v_mul_f64 v[68:69], v[0:1], s[26:27]
	v_fmac_f64_e32 v[64:65], s[18:19], v[206:207]
	v_add_f64 v[54:55], v[84:85], v[54:55]
	v_fma_f64 v[84:85], s[18:19], v[216:217], v[82:83]
	v_fma_f64 v[82:83], v[214:215], s[14:15], -v[80:81]
	v_fma_f64 v[70:71], s[18:19], v[208:209], v[68:69]
	v_add_f64 v[64:65], v[96:97], v[64:65]
	v_fma_f64 v[68:69], v[208:209], s[18:19], -v[68:69]
	v_mul_f64 v[2:3], v[2:3], s[28:29]
	v_add_f64 v[66:67], v[82:83], v[66:67]
	v_mul_f64 v[82:83], v[76:77], s[24:25]
	v_fmac_f64_e32 v[80:81], s[14:15], v[214:215]
	v_add_f64 v[68:69], v[98:99], v[68:69]
	v_fma_f64 v[72:73], v[206:207], s[20:21], -v[2:3]
	v_mul_f64 v[0:1], v[0:1], s[28:29]
	v_fmac_f64_e32 v[2:3], s[20:21], v[206:207]
	v_add_f64 v[64:65], v[80:81], v[64:65]
	v_fma_f64 v[80:81], v[216:217], s[14:15], -v[82:83]
	v_mul_f64 v[78:79], v[78:79], s[34:35]
	v_add_f64 v[72:73], v[96:97], v[72:73]
	v_fma_f64 v[74:75], s[20:21], v[208:209], v[0:1]
	v_add_f64 v[2:3], v[96:97], v[2:3]
	v_fma_f64 v[0:1], v[208:209], s[20:21], -v[0:1]
	v_add_f64 v[68:69], v[80:81], v[68:69]
	v_fma_f64 v[80:81], v[214:215], s[0:1], -v[78:79]
	v_mul_f64 v[76:77], v[76:77], s[34:35]
	v_fmac_f64_e32 v[78:79], s[0:1], v[214:215]
	v_add_f64 v[0:1], v[98:99], v[0:1]
	v_add_f64 v[72:73], v[80:81], v[72:73]
	v_fma_f64 v[80:81], s[0:1], v[216:217], v[76:77]
	v_add_f64 v[2:3], v[78:79], v[2:3]
	v_fma_f64 v[76:77], v[216:217], s[0:1], -v[76:77]
	v_add_f64 v[78:79], v[110:111], -v[138:139]
	v_add_f64 v[74:75], v[98:99], v[74:75]
	v_add_f64 v[0:1], v[76:77], v[0:1]
	;; [unrolled: 1-line block ×3, first 2 shown]
	v_add_f64 v[76:77], v[108:109], -v[136:137]
	v_mul_f64 v[218:219], v[78:79], s[38:39]
	v_add_f64 v[74:75], v[80:81], v[74:75]
	v_add_f64 v[224:225], v[110:111], v[138:139]
	v_mul_f64 v[220:221], v[76:77], s[38:39]
	v_fma_f64 v[80:81], s[14:15], v[222:223], v[218:219]
	v_add_f64 v[4:5], v[80:81], v[4:5]
	v_fma_f64 v[80:81], v[224:225], s[14:15], -v[220:221]
	v_add_f64 v[62:63], v[98:99], v[62:63]
	v_add_f64 v[6:7], v[80:81], v[6:7]
	v_mul_f64 v[80:81], v[78:79], s[28:29]
	v_add_f64 v[62:63], v[84:85], v[62:63]
	v_fma_f64 v[84:85], s[14:15], v[216:217], v[82:83]
	v_fma_f64 v[82:83], v[222:223], s[20:21], -v[80:81]
	v_add_f64 v[10:11], v[82:83], v[10:11]
	v_mul_f64 v[82:83], v[76:77], s[28:29]
	v_fmac_f64_e32 v[80:81], s[20:21], v[222:223]
	v_add_f64 v[8:9], v[80:81], v[8:9]
	v_fma_f64 v[80:81], v[224:225], s[20:21], -v[82:83]
	v_add_f64 v[70:71], v[98:99], v[70:71]
	v_add_f64 v[12:13], v[80:81], v[12:13]
	v_mul_f64 v[80:81], v[78:79], s[44:45]
	v_add_f64 v[70:71], v[84:85], v[70:71]
	v_fma_f64 v[84:85], s[20:21], v[224:225], v[82:83]
	v_fma_f64 v[82:83], v[222:223], s[16:17], -v[80:81]
	v_add_f64 v[18:19], v[82:83], v[18:19]
	v_mul_f64 v[82:83], v[76:77], s[44:45]
	v_fmac_f64_e32 v[80:81], s[16:17], v[222:223]
	v_add_f64 v[16:17], v[80:81], v[16:17]
	v_fma_f64 v[80:81], v[224:225], s[16:17], -v[82:83]
	v_add_f64 v[52:53], v[80:81], v[52:53]
	v_mul_f64 v[80:81], v[78:79], s[34:35]
	v_add_f64 v[14:15], v[84:85], v[14:15]
	v_fma_f64 v[84:85], s[16:17], v[224:225], v[82:83]
	v_fma_f64 v[82:83], v[222:223], s[0:1], -v[80:81]
	v_add_f64 v[58:59], v[82:83], v[58:59]
	v_mul_f64 v[82:83], v[76:77], s[34:35]
	v_fmac_f64_e32 v[80:81], s[0:1], v[222:223]
	v_add_f64 v[56:57], v[80:81], v[56:57]
	v_fma_f64 v[80:81], v[224:225], s[0:1], -v[82:83]
	;; [unrolled: 10-line block ×3, first 2 shown]
	v_mul_f64 v[78:79], v[78:79], s[26:27]
	v_add_f64 v[68:69], v[80:81], v[68:69]
	v_fma_f64 v[80:81], v[222:223], s[18:19], -v[78:79]
	v_mul_f64 v[76:77], v[76:77], s[26:27]
	v_fmac_f64_e32 v[78:79], s[18:19], v[222:223]
	v_add_f64 v[72:73], v[80:81], v[72:73]
	v_fma_f64 v[80:81], s[18:19], v[224:225], v[76:77]
	v_add_f64 v[2:3], v[78:79], v[2:3]
	v_fma_f64 v[76:77], v[224:225], s[18:19], -v[76:77]
	v_add_f64 v[78:79], v[114:115], -v[134:135]
	v_add_f64 v[0:1], v[76:77], v[0:1]
	v_add_f64 v[230:231], v[112:113], v[132:133]
	v_add_f64 v[76:77], v[112:113], -v[132:133]
	v_mul_f64 v[226:227], v[78:79], s[22:23]
	v_add_f64 v[74:75], v[80:81], v[74:75]
	v_add_f64 v[238:239], v[114:115], v[134:135]
	v_mul_f64 v[228:229], v[76:77], s[22:23]
	v_fma_f64 v[80:81], s[16:17], v[230:231], v[226:227]
	v_add_f64 v[4:5], v[80:81], v[4:5]
	v_fma_f64 v[80:81], v[238:239], s[16:17], -v[228:229]
	v_add_f64 v[6:7], v[80:81], v[6:7]
	v_mul_f64 v[80:81], v[78:79], s[40:41]
	v_add_f64 v[62:63], v[84:85], v[62:63]
	v_fma_f64 v[84:85], s[10:11], v[224:225], v[82:83]
	v_fma_f64 v[82:83], v[230:231], s[18:19], -v[80:81]
	v_add_f64 v[10:11], v[82:83], v[10:11]
	v_mul_f64 v[82:83], v[76:77], s[40:41]
	v_fmac_f64_e32 v[80:81], s[18:19], v[230:231]
	v_add_f64 v[8:9], v[80:81], v[8:9]
	v_fma_f64 v[80:81], v[238:239], s[18:19], -v[82:83]
	v_add_f64 v[12:13], v[80:81], v[12:13]
	v_mul_f64 v[80:81], v[78:79], s[34:35]
	v_add_f64 v[70:71], v[84:85], v[70:71]
	v_fma_f64 v[84:85], s[18:19], v[238:239], v[82:83]
	v_fma_f64 v[82:83], v[230:231], s[0:1], -v[80:81]
	v_add_f64 v[18:19], v[82:83], v[18:19]
	v_mul_f64 v[82:83], v[76:77], s[34:35]
	v_fmac_f64_e32 v[80:81], s[0:1], v[230:231]
	;; [unrolled: 10-line block ×4, first 2 shown]
	v_add_f64 v[64:65], v[80:81], v[64:65]
	v_fma_f64 v[80:81], v[238:239], s[20:21], -v[82:83]
	v_mul_f64 v[78:79], v[78:79], s[36:37]
	v_add_f64 v[68:69], v[80:81], v[68:69]
	v_fma_f64 v[80:81], v[230:231], s[10:11], -v[78:79]
	v_mul_f64 v[76:77], v[76:77], s[36:37]
	v_fmac_f64_e32 v[78:79], s[10:11], v[230:231]
	v_add_f64 v[88:89], v[78:79], v[2:3]
	v_fma_f64 v[2:3], v[238:239], s[10:11], -v[76:77]
	v_add_f64 v[90:91], v[2:3], v[0:1]
	v_add_f64 v[0:1], v[118:119], -v[130:131]
	v_add_f64 v[242:243], v[116:117], v[128:129]
	v_add_f64 v[2:3], v[116:117], -v[128:129]
	v_mul_f64 v[240:241], v[0:1], s[26:27]
	v_add_f64 v[72:73], v[80:81], v[72:73]
	v_fma_f64 v[80:81], s[10:11], v[238:239], v[76:77]
	v_add_f64 v[244:245], v[118:119], v[130:131]
	v_mul_f64 v[246:247], v[2:3], s[26:27]
	v_fma_f64 v[76:77], s[18:19], v[242:243], v[240:241]
	v_add_f64 v[4:5], v[76:77], v[4:5]
	v_fma_f64 v[76:77], v[244:245], s[18:19], -v[246:247]
	v_add_f64 v[6:7], v[76:77], v[6:7]
	v_mul_f64 v[76:77], v[0:1], s[24:25]
	v_fma_f64 v[78:79], v[242:243], s[14:15], -v[76:77]
	v_add_f64 v[10:11], v[78:79], v[10:11]
	v_mul_f64 v[78:79], v[2:3], s[24:25]
	v_fmac_f64_e32 v[76:77], s[14:15], v[242:243]
	v_add_f64 v[8:9], v[76:77], v[8:9]
	v_fma_f64 v[76:77], v[244:245], s[14:15], -v[78:79]
	v_add_f64 v[12:13], v[76:77], v[12:13]
	v_mul_f64 v[76:77], v[0:1], s[30:31]
	v_add_f64 v[74:75], v[80:81], v[74:75]
	v_fma_f64 v[80:81], s[14:15], v[244:245], v[78:79]
	v_fma_f64 v[78:79], v[242:243], s[10:11], -v[76:77]
	v_add_f64 v[18:19], v[78:79], v[18:19]
	v_mul_f64 v[78:79], v[2:3], s[30:31]
	v_fma_f64 v[22:23], v[244:245], s[10:11], -v[78:79]
	v_add_f64 v[14:15], v[80:81], v[14:15]
	v_fma_f64 v[80:81], s[10:11], v[244:245], v[78:79]
	v_add_f64 v[22:23], v[22:23], v[52:53]
	v_mul_f64 v[52:53], v[0:1], s[42:43]
	v_add_f64 v[20:21], v[80:81], v[54:55]
	v_fma_f64 v[54:55], v[242:243], s[20:21], -v[52:53]
	v_mul_f64 v[26:27], v[2:3], s[42:43]
	v_add_f64 v[24:25], v[54:55], v[58:59]
	v_fma_f64 v[54:55], s[20:21], v[244:245], v[26:27]
	v_fma_f64 v[26:27], v[244:245], s[20:21], -v[26:27]
	v_add_f64 v[62:63], v[84:85], v[62:63]
	v_fma_f64 v[84:85], s[20:21], v[238:239], v[82:83]
	v_add_f64 v[82:83], v[26:27], v[60:61]
	v_mul_f64 v[26:27], v[0:1], s[34:35]
	v_fmac_f64_e32 v[76:77], s[10:11], v[242:243]
	v_fma_f64 v[30:31], v[242:243], s[0:1], -v[26:27]
	v_add_f64 v[16:17], v[76:77], v[16:17]
	v_add_f64 v[76:77], v[30:31], v[66:67]
	v_mul_f64 v[30:31], v[2:3], s[34:35]
	v_fmac_f64_e32 v[26:27], s[0:1], v[242:243]
	v_add_f64 v[70:71], v[84:85], v[70:71]
	v_add_f64 v[84:85], v[26:27], v[64:65]
	v_fma_f64 v[26:27], v[244:245], s[0:1], -v[30:31]
	v_fmac_f64_e32 v[52:53], s[20:21], v[242:243]
	v_add_f64 v[86:87], v[26:27], v[68:69]
	v_mul_f64 v[26:27], v[0:1], s[22:23]
	v_add_f64 v[80:81], v[52:53], v[56:57]
	v_fma_f64 v[52:53], s[0:1], v[244:245], v[30:31]
	v_fma_f64 v[0:1], v[242:243], s[16:17], -v[26:27]
	v_mul_f64 v[30:31], v[2:3], s[22:23]
	v_fmac_f64_e32 v[26:27], s[16:17], v[242:243]
	v_add_f64 v[92:93], v[26:27], v[88:89]
	v_fma_f64 v[26:27], v[244:245], s[16:17], -v[30:31]
	v_add_f64 v[88:89], v[122:123], -v[126:127]
	v_add_f64 v[94:95], v[26:27], v[90:91]
	v_add_f64 v[250:251], v[120:121], v[124:125]
	v_add_f64 v[90:91], v[120:121], -v[124:125]
	v_mul_f64 v[248:249], v[88:89], s[28:29]
	v_add_f64 v[252:253], v[122:123], v[126:127]
	v_mul_f64 v[254:255], v[90:91], s[28:29]
	v_fma_f64 v[26:27], s[20:21], v[250:251], v[248:249]
	v_add_f64 v[56:57], v[26:27], v[4:5]
	v_fma_f64 v[4:5], v[252:253], s[20:21], -v[254:255]
	v_add_f64 v[58:59], v[4:5], v[6:7]
	v_mul_f64 v[4:5], v[88:89], s[34:35]
	v_fma_f64 v[6:7], v[250:251], s[0:1], -v[4:5]
	v_add_f64 v[78:79], v[52:53], v[70:71]
	v_add_f64 v[52:53], v[6:7], v[10:11]
	v_mul_f64 v[6:7], v[90:91], s[34:35]
	v_fmac_f64_e32 v[4:5], s[0:1], v[250:251]
	v_add_f64 v[64:65], v[4:5], v[8:9]
	v_fma_f64 v[4:5], v[252:253], s[0:1], -v[6:7]
	v_add_f64 v[66:67], v[4:5], v[12:13]
	v_mul_f64 v[4:5], v[88:89], s[26:27]
	v_fma_f64 v[10:11], s[0:1], v[252:253], v[6:7]
	v_fma_f64 v[6:7], v[250:251], s[18:19], -v[4:5]
	v_add_f64 v[60:61], v[6:7], v[18:19]
	v_mul_f64 v[6:7], v[90:91], s[26:27]
	v_fmac_f64_e32 v[4:5], s[18:19], v[250:251]
	v_add_f64 v[0:1], v[0:1], v[72:73]
	v_fma_f64 v[2:3], s[16:17], v[244:245], v[30:31]
	v_add_f64 v[72:73], v[4:5], v[16:17]
	v_fma_f64 v[4:5], v[252:253], s[18:19], -v[6:7]
	v_add_f64 v[2:3], v[2:3], v[74:75]
	v_add_f64 v[74:75], v[4:5], v[22:23]
	v_mul_f64 v[4:5], v[88:89], s[36:37]
	v_fma_f64 v[8:9], s[18:19], v[252:253], v[6:7]
	v_fma_f64 v[6:7], v[250:251], s[10:11], -v[4:5]
	v_add_f64 v[68:69], v[6:7], v[24:25]
	v_mul_f64 v[6:7], v[90:91], s[36:37]
	v_fmac_f64_e32 v[4:5], s[10:11], v[250:251]
	v_add_f64 v[80:81], v[4:5], v[80:81]
	v_fma_f64 v[4:5], v[252:253], s[10:11], -v[6:7]
	v_add_f64 v[82:83], v[4:5], v[82:83]
	v_mul_f64 v[4:5], v[88:89], s[22:23]
	v_add_f64 v[28:29], v[54:55], v[62:63]
	v_add_f64 v[62:63], v[8:9], v[20:21]
	v_fma_f64 v[8:9], s[10:11], v[252:253], v[6:7]
	v_fma_f64 v[6:7], v[250:251], s[16:17], -v[4:5]
	v_add_f64 v[76:77], v[6:7], v[76:77]
	v_mul_f64 v[6:7], v[90:91], s[22:23]
	v_fmac_f64_e32 v[4:5], s[16:17], v[250:251]
	v_add_f64 v[84:85], v[4:5], v[84:85]
	v_fma_f64 v[4:5], v[252:253], s[16:17], -v[6:7]
	v_add_f64 v[86:87], v[4:5], v[86:87]
	v_mul_f64 v[4:5], v[88:89], s[24:25]
	v_add_f64 v[70:71], v[8:9], v[28:29]
	v_fma_f64 v[8:9], s[16:17], v[252:253], v[6:7]
	v_fma_f64 v[6:7], v[250:251], s[14:15], -v[4:5]
	v_add_f64 v[88:89], v[6:7], v[0:1]
	v_mul_f64 v[0:1], v[90:91], s[24:25]
	v_fma_f64 v[6:7], s[14:15], v[252:253], v[0:1]
	v_fma_f64 v[0:1], v[252:253], s[14:15], -v[0:1]
	v_lshl_add_u64 v[200:201], v[232:233], 0, 13
	v_fmac_f64_e32 v[4:5], s[14:15], v[250:251]
	v_add_f64 v[94:95], v[0:1], v[94:95]
	v_mul_lo_u16_e32 v0, 13, v232
	v_accvgpr_read_b32 v32, a50
	v_add_f64 v[54:55], v[10:11], v[14:15]
	v_add_f64 v[78:79], v[8:9], v[78:79]
	;; [unrolled: 1-line block ×4, first 2 shown]
	v_lshl_add_u32 v5, v0, 4, v32
	v_mul_u32_u24_e32 v33, 13, v200
	s_waitcnt lgkmcnt(0)
	; wave barrier
	ds_write_b128 v5, v[148:151]
	ds_write_b128 v5, v[160:163] offset:16
	ds_write_b128 v5, v[168:171] offset:32
	;; [unrolled: 1-line block ×12, first 2 shown]
	s_and_saveexec_b64 s[22:23], vcc
	s_cbranch_execz .LBB0_7
; %bb.6:
	v_mul_f64 v[0:1], v[206:207], s[0:1]
	v_mul_f64 v[6:7], v[214:215], s[10:11]
	v_add_f64 v[0:1], v[0:1], -v[202:203]
	v_add_f64 v[6:7], v[6:7], -v[210:211]
	v_add_f64 v[0:1], v[96:97], v[0:1]
	v_add_f64 v[0:1], v[6:7], v[0:1]
	;; [unrolled: 1-line block ×11, first 2 shown]
	v_mul_f64 v[2:3], v[208:209], s[0:1]
	v_add_f64 v[6:7], v[6:7], v[138:139]
	v_add_f64 v[2:3], v[204:205], v[2:3]
	;; [unrolled: 1-line block ×11, first 2 shown]
	v_mul_f64 v[8:9], v[216:217], s[10:11]
	v_add_f64 v[6:7], v[6:7], v[124:125]
	v_mul_f64 v[10:11], v[222:223], s[14:15]
	v_mul_f64 v[12:13], v[224:225], s[14:15]
	v_add_f64 v[8:9], v[212:213], v[8:9]
	v_add_f64 v[6:7], v[6:7], v[128:129]
	v_mul_f64 v[14:15], v[230:231], s[16:17]
	v_mul_f64 v[16:17], v[238:239], s[16:17]
	v_add_f64 v[12:13], v[220:221], v[12:13]
	v_add_f64 v[2:3], v[8:9], v[2:3]
	v_add_f64 v[10:11], v[10:11], -v[218:219]
	v_add_f64 v[6:7], v[6:7], v[132:133]
	v_mul_f64 v[18:19], v[242:243], s[18:19]
	v_mul_f64 v[20:21], v[244:245], s[18:19]
	v_add_f64 v[16:17], v[228:229], v[16:17]
	v_add_f64 v[2:3], v[12:13], v[2:3]
	v_add_f64 v[14:15], v[14:15], -v[226:227]
	v_add_f64 v[0:1], v[10:11], v[0:1]
	v_add_f64 v[6:7], v[6:7], v[136:137]
	v_mul_f64 v[22:23], v[250:251], s[20:21]
	v_mul_f64 v[24:25], v[252:253], s[20:21]
	v_add_f64 v[20:21], v[246:247], v[20:21]
	v_add_f64 v[2:3], v[16:17], v[2:3]
	v_add_f64 v[12:13], v[18:19], -v[240:241]
	v_add_f64 v[0:1], v[14:15], v[0:1]
	v_add_f64 v[6:7], v[6:7], v[140:141]
	;; [unrolled: 1-line block ×4, first 2 shown]
	v_add_f64 v[8:9], v[22:23], -v[248:249]
	v_add_f64 v[0:1], v[12:13], v[0:1]
	v_add_f64 v[96:97], v[6:7], v[144:145]
	v_lshl_add_u32 v4, v33, 4, v32
	v_add_f64 v[2:3], v[24:25], v[2:3]
	v_add_f64 v[0:1], v[8:9], v[0:1]
	ds_write_b128 v4, v[96:99]
	ds_write_b128 v4, v[0:3] offset:16
	ds_write_b128 v4, v[52:55] offset:32
	;; [unrolled: 1-line block ×12, first 2 shown]
.LBB0_7:
	s_or_b64 exec, exec, s[22:23]
	v_lshl_add_u64 v[156:157], v[232:233], 0, 26
	s_movk_i32 s0, 0x4f
	v_mul_lo_u16_sdwa v0, v156, s0 dst_sel:DWORD dst_unused:UNUSED_PAD src0_sel:BYTE_0 src1_sel:DWORD
	v_lshrrev_b16_e32 v0, 10, v0
	v_mul_lo_u16_e32 v0, 13, v0
	v_lshlrev_b32_e32 v202, 6, v232
	v_sub_u16_e32 v4, v156, v0
	s_waitcnt lgkmcnt(0)
	; wave barrier
	s_waitcnt lgkmcnt(0)
	global_load_dwordx4 v[108:111], v202, s[8:9]
	global_load_dwordx4 v[104:107], v202, s[8:9] offset:16
	global_load_dwordx4 v[100:103], v202, s[8:9] offset:32
	;; [unrolled: 1-line block ×3, first 2 shown]
	v_lshlrev_b16_e32 v0, 2, v4
	v_and_b32_e32 v0, 0xfc, v0
	v_lshlrev_b32_e32 v0, 4, v0
	global_load_dwordx4 v[124:127], v0, s[8:9]
	global_load_dwordx4 v[120:123], v0, s[8:9] offset:16
	global_load_dwordx4 v[116:119], v0, s[8:9] offset:32
	;; [unrolled: 1-line block ×3, first 2 shown]
	ds_read_b128 v[136:139], v237
	ds_read_b128 v[132:135], v237 offset:208
	ds_read_b128 v[0:3], v237 offset:1248
	;; [unrolled: 1-line block ×14, first 2 shown]
	s_mov_b32 s10, 0x134454ff
	s_mov_b32 s11, 0x3fee6f0e
	;; [unrolled: 1-line block ×10, first 2 shown]
	v_mov_b32_e32 v203, 0
	v_lshlrev_b32_e32 v6, 5, v232
	v_lshl_add_u64 v[158:159], s[8:9], 0, v[202:203]
	s_waitcnt lgkmcnt(0)
	; wave barrier
	s_waitcnt lgkmcnt(0)
	v_lshl_add_u32 v233, v232, 4, v32
	v_lshlrev_b32_e32 v202, 4, v232
	s_waitcnt vmcnt(7)
	v_mul_f64 v[8:9], v[154:155], v[110:111]
	s_waitcnt vmcnt(6)
	v_mul_f64 v[12:13], v[2:3], v[106:107]
	v_fma_f64 v[8:9], v[152:153], v[108:109], -v[8:9]
	v_mul_f64 v[14:15], v[0:1], v[106:107]
	s_waitcnt vmcnt(5)
	v_mul_f64 v[16:17], v[178:179], v[102:103]
	v_fma_f64 v[12:13], v[0:1], v[104:105], -v[12:13]
	v_add_f64 v[0:1], v[136:137], v[8:9]
	s_waitcnt vmcnt(4)
	v_mul_f64 v[20:21], v[146:147], v[98:99]
	v_mul_f64 v[26:27], v[142:143], v[106:107]
	v_fma_f64 v[16:17], v[176:177], v[100:101], -v[16:17]
	v_add_f64 v[0:1], v[0:1], v[12:13]
	v_mul_f64 v[10:11], v[152:153], v[110:111]
	v_mul_f64 v[22:23], v[144:145], v[98:99]
	;; [unrolled: 1-line block ×3, first 2 shown]
	v_fma_f64 v[20:21], v[144:145], v[96:97], -v[20:21]
	v_fma_f64 v[26:27], v[140:141], v[104:105], -v[26:27]
	v_add_f64 v[0:1], v[0:1], v[16:17]
	s_waitcnt vmcnt(3)
	v_mul_f64 v[140:141], v[172:173], v[126:127]
	v_mul_f64 v[18:19], v[176:177], v[102:103]
	v_mul_f64 v[30:31], v[150:151], v[98:99]
	v_fmac_f64_e32 v[10:11], v[154:155], v[108:109]
	v_fmac_f64_e32 v[22:23], v[146:147], v[96:97]
	;; [unrolled: 1-line block ×3, first 2 shown]
	v_add_f64 v[144:145], v[0:1], v[20:21]
	v_mul_f64 v[0:1], v[170:171], v[126:127]
	s_waitcnt vmcnt(2)
	v_mul_f64 v[142:143], v[182:183], v[122:123]
	v_fma_f64 v[170:171], v[170:171], v[124:125], -v[140:141]
	v_add_f64 v[140:141], v[12:13], v[16:17]
	v_mul_f64 v[174:175], v[148:149], v[98:99]
	v_fmac_f64_e32 v[14:15], v[2:3], v[104:105]
	v_fmac_f64_e32 v[18:19], v[178:179], v[100:101]
	v_fma_f64 v[30:31], v[148:149], v[96:97], -v[30:31]
	s_waitcnt vmcnt(1)
	v_mul_f64 v[146:147], v[190:191], v[118:119]
	s_waitcnt vmcnt(0)
	v_mul_f64 v[148:149], v[194:195], v[114:115]
	v_fmac_f64_e32 v[0:1], v[172:173], v[124:125]
	v_fma_f64 v[172:173], v[180:181], v[120:121], -v[142:143]
	v_fma_f64 v[140:141], -0.5, v[140:141], v[136:137]
	v_add_f64 v[142:143], v[10:11], -v[22:23]
	v_fmac_f64_e32 v[174:175], v[150:151], v[96:97]
	v_fma_f64 v[176:177], v[188:189], v[116:117], -v[146:147]
	v_fma_f64 v[178:179], v[192:193], v[112:113], -v[148:149]
	v_fma_f64 v[148:149], s[10:11], v[142:143], v[140:141]
	v_add_f64 v[146:147], v[14:15], -v[18:19]
	v_add_f64 v[150:151], v[8:9], -v[12:13]
	;; [unrolled: 1-line block ×3, first 2 shown]
	v_fmac_f64_e32 v[140:141], s[16:17], v[142:143]
	v_fmac_f64_e32 v[148:149], s[0:1], v[146:147]
	v_add_f64 v[150:151], v[150:151], v[152:153]
	v_fmac_f64_e32 v[140:141], s[18:19], v[146:147]
	v_fmac_f64_e32 v[148:149], s[14:15], v[150:151]
	;; [unrolled: 1-line block ×3, first 2 shown]
	v_add_f64 v[150:151], v[8:9], v[20:21]
	v_fmac_f64_e32 v[136:137], -0.5, v[150:151]
	v_fma_f64 v[152:153], s[16:17], v[146:147], v[136:137]
	v_fmac_f64_e32 v[136:137], s[10:11], v[146:147]
	v_fmac_f64_e32 v[152:153], s[0:1], v[142:143]
	;; [unrolled: 1-line block ×3, first 2 shown]
	v_add_f64 v[142:143], v[138:139], v[10:11]
	v_add_f64 v[142:143], v[142:143], v[14:15]
	;; [unrolled: 1-line block ×3, first 2 shown]
	v_add_f64 v[150:151], v[12:13], -v[8:9]
	v_add_f64 v[154:155], v[16:17], -v[20:21]
	v_add_f64 v[146:147], v[142:143], v[22:23]
	v_add_f64 v[142:143], v[14:15], v[18:19]
	;; [unrolled: 1-line block ×3, first 2 shown]
	v_fma_f64 v[142:143], -0.5, v[142:143], v[138:139]
	v_add_f64 v[8:9], v[8:9], -v[20:21]
	v_fmac_f64_e32 v[152:153], s[14:15], v[150:151]
	v_fmac_f64_e32 v[136:137], s[14:15], v[150:151]
	v_fma_f64 v[150:151], s[16:17], v[8:9], v[142:143]
	v_add_f64 v[12:13], v[12:13], -v[16:17]
	v_add_f64 v[16:17], v[10:11], -v[14:15]
	;; [unrolled: 1-line block ×3, first 2 shown]
	v_fmac_f64_e32 v[142:143], s[10:11], v[8:9]
	v_fmac_f64_e32 v[150:151], s[18:19], v[12:13]
	v_add_f64 v[16:17], v[16:17], v[20:21]
	v_fmac_f64_e32 v[142:143], s[0:1], v[12:13]
	v_fmac_f64_e32 v[150:151], s[14:15], v[16:17]
	;; [unrolled: 1-line block ×3, first 2 shown]
	v_add_f64 v[16:17], v[10:11], v[22:23]
	v_mul_f64 v[24:25], v[162:163], v[110:111]
	v_fmac_f64_e32 v[138:139], -0.5, v[16:17]
	v_fma_f64 v[24:25], v[160:161], v[108:109], -v[24:25]
	v_fma_f64 v[154:155], s[10:11], v[12:13], v[138:139]
	v_fmac_f64_e32 v[138:139], s[16:17], v[12:13]
	v_mul_f64 v[28:29], v[186:187], v[102:103]
	v_fmac_f64_e32 v[154:155], s[18:19], v[8:9]
	v_fmac_f64_e32 v[138:139], s[0:1], v[8:9]
	v_add_f64 v[8:9], v[132:133], v[24:25]
	v_fma_f64 v[28:29], v[184:185], v[100:101], -v[28:29]
	v_add_f64 v[8:9], v[8:9], v[26:27]
	v_mul_f64 v[164:165], v[160:161], v[110:111]
	v_add_f64 v[8:9], v[8:9], v[28:29]
	v_mul_f64 v[168:169], v[184:185], v[102:103]
	v_fmac_f64_e32 v[164:165], v[162:163], v[108:109]
	v_mul_f64 v[2:3], v[180:181], v[122:123]
	v_add_f64 v[10:11], v[14:15], -v[10:11]
	v_add_f64 v[14:15], v[18:19], -v[22:23]
	v_add_f64 v[180:181], v[8:9], v[30:31]
	v_add_f64 v[8:9], v[26:27], v[28:29]
	v_fmac_f64_e32 v[168:169], v[186:187], v[100:101]
	v_add_f64 v[10:11], v[10:11], v[14:15]
	v_fma_f64 v[184:185], -0.5, v[8:9], v[132:133]
	v_add_f64 v[8:9], v[164:165], -v[174:175]
	v_mul_f64 v[160:161], v[188:189], v[118:119]
	v_fmac_f64_e32 v[154:155], s[14:15], v[10:11]
	v_fmac_f64_e32 v[138:139], s[14:15], v[10:11]
	v_fma_f64 v[188:189], s[10:11], v[8:9], v[184:185]
	v_add_f64 v[10:11], v[166:167], -v[168:169]
	v_add_f64 v[12:13], v[24:25], -v[26:27]
	;; [unrolled: 1-line block ×3, first 2 shown]
	v_fmac_f64_e32 v[184:185], s[16:17], v[8:9]
	v_fmac_f64_e32 v[188:189], s[0:1], v[10:11]
	v_add_f64 v[12:13], v[12:13], v[14:15]
	v_fmac_f64_e32 v[184:185], s[18:19], v[10:11]
	v_fmac_f64_e32 v[188:189], s[14:15], v[12:13]
	;; [unrolled: 1-line block ×3, first 2 shown]
	v_add_f64 v[12:13], v[24:25], v[30:31]
	v_fmac_f64_e32 v[132:133], -0.5, v[12:13]
	v_mul_f64 v[162:163], v[192:193], v[114:115]
	v_fma_f64 v[192:193], s[16:17], v[10:11], v[132:133]
	v_fmac_f64_e32 v[132:133], s[10:11], v[10:11]
	v_fmac_f64_e32 v[192:193], s[0:1], v[8:9]
	;; [unrolled: 1-line block ×3, first 2 shown]
	v_add_f64 v[8:9], v[134:135], v[164:165]
	v_add_f64 v[8:9], v[8:9], v[166:167]
	;; [unrolled: 1-line block ×3, first 2 shown]
	v_fmac_f64_e32 v[2:3], v[182:183], v[120:121]
	v_add_f64 v[12:13], v[26:27], -v[24:25]
	v_add_f64 v[14:15], v[28:29], -v[30:31]
	v_add_f64 v[182:183], v[8:9], v[174:175]
	v_add_f64 v[8:9], v[166:167], v[168:169]
	;; [unrolled: 1-line block ×3, first 2 shown]
	v_fma_f64 v[186:187], -0.5, v[8:9], v[134:135]
	v_add_f64 v[8:9], v[24:25], -v[30:31]
	v_fmac_f64_e32 v[160:161], v[190:191], v[116:117]
	v_fmac_f64_e32 v[192:193], s[14:15], v[12:13]
	;; [unrolled: 1-line block ×3, first 2 shown]
	v_fma_f64 v[190:191], s[16:17], v[8:9], v[186:187]
	v_add_f64 v[10:11], v[26:27], -v[28:29]
	v_add_f64 v[12:13], v[164:165], -v[166:167]
	;; [unrolled: 1-line block ×3, first 2 shown]
	v_fmac_f64_e32 v[186:187], s[10:11], v[8:9]
	v_fmac_f64_e32 v[190:191], s[18:19], v[10:11]
	v_add_f64 v[12:13], v[12:13], v[14:15]
	v_fmac_f64_e32 v[186:187], s[0:1], v[10:11]
	v_fmac_f64_e32 v[190:191], s[14:15], v[12:13]
	;; [unrolled: 1-line block ×3, first 2 shown]
	v_add_f64 v[12:13], v[164:165], v[174:175]
	v_fmac_f64_e32 v[134:135], -0.5, v[12:13]
	v_fmac_f64_e32 v[162:163], v[194:195], v[112:113]
	v_fma_f64 v[194:195], s[10:11], v[10:11], v[134:135]
	v_fmac_f64_e32 v[134:135], s[16:17], v[10:11]
	v_fmac_f64_e32 v[194:195], s[18:19], v[8:9]
	;; [unrolled: 1-line block ×3, first 2 shown]
	v_add_f64 v[8:9], v[128:129], v[170:171]
	v_add_f64 v[8:9], v[8:9], v[172:173]
	;; [unrolled: 1-line block ×3, first 2 shown]
	v_add_f64 v[12:13], v[166:167], -v[164:165]
	v_add_f64 v[14:15], v[168:169], -v[174:175]
	v_add_f64 v[164:165], v[8:9], v[178:179]
	v_add_f64 v[8:9], v[172:173], v[176:177]
	;; [unrolled: 1-line block ×3, first 2 shown]
	v_fma_f64 v[196:197], -0.5, v[8:9], v[128:129]
	v_add_f64 v[8:9], v[0:1], -v[162:163]
	v_fmac_f64_e32 v[194:195], s[14:15], v[12:13]
	v_fmac_f64_e32 v[134:135], s[14:15], v[12:13]
	v_fma_f64 v[168:169], s[10:11], v[8:9], v[196:197]
	v_add_f64 v[10:11], v[2:3], -v[160:161]
	v_add_f64 v[12:13], v[170:171], -v[172:173]
	;; [unrolled: 1-line block ×3, first 2 shown]
	v_fmac_f64_e32 v[196:197], s[16:17], v[8:9]
	v_fmac_f64_e32 v[168:169], s[0:1], v[10:11]
	v_add_f64 v[12:13], v[12:13], v[14:15]
	v_fmac_f64_e32 v[196:197], s[18:19], v[10:11]
	v_fmac_f64_e32 v[168:169], s[14:15], v[12:13]
	;; [unrolled: 1-line block ×3, first 2 shown]
	v_add_f64 v[12:13], v[170:171], v[178:179]
	v_fmac_f64_e32 v[128:129], -0.5, v[12:13]
	v_fma_f64 v[174:175], s[16:17], v[10:11], v[128:129]
	v_fmac_f64_e32 v[128:129], s[10:11], v[10:11]
	v_fmac_f64_e32 v[174:175], s[0:1], v[8:9]
	;; [unrolled: 1-line block ×3, first 2 shown]
	v_add_f64 v[8:9], v[130:131], v[0:1]
	v_add_f64 v[8:9], v[8:9], v[2:3]
	v_add_f64 v[8:9], v[8:9], v[160:161]
	v_add_f64 v[12:13], v[172:173], -v[170:171]
	v_add_f64 v[14:15], v[176:177], -v[178:179]
	v_add_f64 v[166:167], v[8:9], v[162:163]
	v_add_f64 v[8:9], v[2:3], v[160:161]
	;; [unrolled: 1-line block ×3, first 2 shown]
	v_fma_f64 v[198:199], -0.5, v[8:9], v[130:131]
	v_add_f64 v[8:9], v[170:171], -v[178:179]
	v_fmac_f64_e32 v[174:175], s[14:15], v[12:13]
	v_fmac_f64_e32 v[128:129], s[14:15], v[12:13]
	v_fma_f64 v[170:171], s[16:17], v[8:9], v[198:199]
	v_add_f64 v[10:11], v[172:173], -v[176:177]
	v_add_f64 v[12:13], v[0:1], -v[2:3]
	;; [unrolled: 1-line block ×3, first 2 shown]
	v_fmac_f64_e32 v[198:199], s[10:11], v[8:9]
	v_fmac_f64_e32 v[170:171], s[18:19], v[10:11]
	v_add_f64 v[12:13], v[12:13], v[14:15]
	v_fmac_f64_e32 v[198:199], s[0:1], v[10:11]
	v_fmac_f64_e32 v[170:171], s[14:15], v[12:13]
	;; [unrolled: 1-line block ×3, first 2 shown]
	v_add_f64 v[12:13], v[0:1], v[162:163]
	v_fmac_f64_e32 v[130:131], -0.5, v[12:13]
	v_fma_f64 v[176:177], s[10:11], v[10:11], v[130:131]
	v_add_f64 v[0:1], v[2:3], -v[0:1]
	v_add_f64 v[2:3], v[160:161], -v[162:163]
	v_fmac_f64_e32 v[130:131], s[16:17], v[10:11]
	v_fmac_f64_e32 v[176:177], s[18:19], v[8:9]
	v_add_f64 v[0:1], v[0:1], v[2:3]
	v_fmac_f64_e32 v[130:131], s[0:1], v[8:9]
	v_fmac_f64_e32 v[176:177], s[14:15], v[0:1]
	;; [unrolled: 1-line block ×3, first 2 shown]
	v_and_b32_e32 v0, 0xff, v4
	v_lshl_add_u32 v4, v0, 4, v32
	v_sub_co_u32_e64 v0, s[0:1], v158, v6
	ds_write_b128 v237, v[144:147]
	ds_write_b128 v237, v[148:151] offset:208
	ds_write_b128 v237, v[152:155] offset:416
	ds_write_b128 v237, v[136:139] offset:624
	ds_write_b128 v237, v[140:143] offset:832
	ds_write_b128 v237, v[180:183] offset:1040
	ds_write_b128 v237, v[188:191] offset:1248
	ds_write_b128 v237, v[192:195] offset:1456
	ds_write_b128 v237, v[132:135] offset:1664
	ds_write_b128 v237, v[184:187] offset:1872
	v_subbrev_co_u32_e64 v1, s[0:1], 0, v159, s[0:1]
	ds_write_b128 v4, v[164:167] offset:2080
	ds_write_b128 v4, v[168:171] offset:2288
	;; [unrolled: 1-line block ×5, first 2 shown]
	s_waitcnt lgkmcnt(0)
	; wave barrier
	s_waitcnt lgkmcnt(0)
	global_load_dwordx4 v[132:135], v[0:1], off offset:832
	global_load_dwordx4 v[128:131], v[0:1], off offset:848
	v_lshlrev_b32_e32 v0, 5, v200
	global_load_dwordx4 v[140:143], v0, s[8:9] offset:832
	global_load_dwordx4 v[136:139], v0, s[8:9] offset:848
	v_lshlrev_b32_e32 v0, 5, v156
	global_load_dwordx4 v[148:151], v0, s[8:9] offset:832
	global_load_dwordx4 v[144:147], v0, s[8:9] offset:848
	v_add_u32_e32 v0, 0x4e0, v6
	global_load_dwordx4 v[156:159], v0, s[8:9] offset:832
	global_load_dwordx4 v[152:155], v0, s[8:9] offset:848
	v_add_u32_e32 v0, 0x680, v6
	global_load_dwordx4 v[164:167], v0, s[8:9] offset:832
	global_load_dwordx4 v[160:163], v0, s[8:9] offset:848
	ds_read_b128 v[0:3], v237
	ds_read_b128 v[184:187], v237 offset:208
	ds_read_b128 v[172:175], v237 offset:2080
	;; [unrolled: 1-line block ×14, first 2 shown]
	s_mov_b32 s0, 0xe8584caa
	s_mov_b32 s1, 0x3febb67a
	;; [unrolled: 1-line block ×4, first 2 shown]
	s_waitcnt vmcnt(9) lgkmcnt(4)
	v_mul_f64 v[6:7], v[214:215], v[134:135]
	s_waitcnt vmcnt(8)
	v_mul_f64 v[10:11], v[174:175], v[130:131]
	v_fma_f64 v[6:7], v[212:213], v[132:133], -v[6:7]
	s_waitcnt vmcnt(6)
	v_mul_f64 v[18:19], v[190:191], v[138:139]
	v_mul_f64 v[8:9], v[212:213], v[134:135]
	v_fma_f64 v[10:11], v[172:173], v[128:129], -v[10:11]
	v_mul_f64 v[12:13], v[172:173], v[130:131]
	v_fma_f64 v[18:19], v[188:189], v[136:137], -v[18:19]
	v_mul_f64 v[20:21], v[188:189], v[138:139]
	s_waitcnt vmcnt(1) lgkmcnt(1)
	v_mul_f64 v[188:189], v[222:223], v[166:167]
	v_fmac_f64_e32 v[8:9], v[214:215], v[132:133]
	v_fmac_f64_e32 v[12:13], v[174:175], v[128:129]
	;; [unrolled: 1-line block ×3, first 2 shown]
	v_fma_f64 v[228:229], v[220:221], v[164:165], -v[188:189]
	s_waitcnt vmcnt(0) lgkmcnt(0)
	v_mul_f64 v[188:189], v[226:227], v[162:163]
	v_add_f64 v[190:191], v[6:7], v[10:11]
	v_mul_f64 v[14:15], v[194:195], v[142:143]
	v_fma_f64 v[238:239], v[224:225], v[160:161], -v[188:189]
	v_add_f64 v[188:189], v[0:1], v[6:7]
	v_fmac_f64_e32 v[0:1], -0.5, v[190:191]
	v_add_f64 v[190:191], v[8:9], -v[12:13]
	v_fma_f64 v[14:15], v[192:193], v[140:141], -v[14:15]
	v_mul_f64 v[16:17], v[192:193], v[142:143]
	v_fma_f64 v[192:193], s[0:1], v[190:191], v[0:1]
	v_fmac_f64_e32 v[0:1], s[8:9], v[190:191]
	v_add_f64 v[190:191], v[2:3], v[8:9]
	v_add_f64 v[8:9], v[8:9], v[12:13]
	v_fmac_f64_e32 v[2:3], -0.5, v[8:9]
	v_add_f64 v[6:7], v[6:7], -v[10:11]
	v_fmac_f64_e32 v[16:17], v[194:195], v[140:141]
	v_mul_f64 v[22:23], v[198:199], v[150:151]
	v_fma_f64 v[194:195], s[8:9], v[6:7], v[2:3]
	v_fmac_f64_e32 v[2:3], s[0:1], v[6:7]
	v_add_f64 v[6:7], v[184:185], v[14:15]
	v_fma_f64 v[22:23], v[196:197], v[148:149], -v[22:23]
	v_mul_f64 v[24:25], v[196:197], v[150:151]
	v_add_f64 v[196:197], v[6:7], v[18:19]
	v_add_f64 v[6:7], v[14:15], v[18:19]
	v_mul_f64 v[26:27], v[206:207], v[146:147]
	v_fmac_f64_e32 v[184:185], -0.5, v[6:7]
	v_add_f64 v[6:7], v[16:17], -v[20:21]
	v_fma_f64 v[26:27], v[204:205], v[144:145], -v[26:27]
	v_mul_f64 v[28:29], v[204:205], v[146:147]
	v_fma_f64 v[204:205], s[0:1], v[6:7], v[184:185]
	v_fmac_f64_e32 v[184:185], s[8:9], v[6:7]
	v_add_f64 v[6:7], v[186:187], v[16:17]
	v_fmac_f64_e32 v[24:25], v[198:199], v[148:149]
	v_add_f64 v[198:199], v[6:7], v[20:21]
	v_add_f64 v[6:7], v[16:17], v[20:21]
	v_fmac_f64_e32 v[186:187], -0.5, v[6:7]
	v_add_f64 v[6:7], v[14:15], -v[18:19]
	v_fmac_f64_e32 v[28:29], v[206:207], v[144:145]
	v_mul_f64 v[174:175], v[210:211], v[154:155]
	v_fma_f64 v[206:207], s[8:9], v[6:7], v[186:187]
	v_fmac_f64_e32 v[186:187], s[0:1], v[6:7]
	v_add_f64 v[6:7], v[180:181], v[22:23]
	v_fma_f64 v[174:175], v[208:209], v[152:153], -v[174:175]
	v_mul_f64 v[200:201], v[208:209], v[154:155]
	v_add_f64 v[208:209], v[6:7], v[26:27]
	v_add_f64 v[6:7], v[22:23], v[26:27]
	v_fmac_f64_e32 v[180:181], -0.5, v[6:7]
	v_add_f64 v[6:7], v[24:25], -v[28:29]
	v_fma_f64 v[212:213], s[0:1], v[6:7], v[180:181]
	v_fmac_f64_e32 v[180:181], s[8:9], v[6:7]
	v_add_f64 v[6:7], v[182:183], v[24:25]
	v_mul_f64 v[30:31], v[218:219], v[158:159]
	v_fmac_f64_e32 v[200:201], v[210:211], v[152:153]
	v_add_f64 v[210:211], v[6:7], v[28:29]
	v_add_f64 v[6:7], v[24:25], v[28:29]
	v_fma_f64 v[30:31], v[216:217], v[156:157], -v[30:31]
	v_fmac_f64_e32 v[182:183], -0.5, v[6:7]
	v_add_f64 v[6:7], v[22:23], -v[26:27]
	v_mul_f64 v[172:173], v[216:217], v[158:159]
	v_fma_f64 v[214:215], s[8:9], v[6:7], v[182:183]
	v_fmac_f64_e32 v[182:183], s[0:1], v[6:7]
	v_add_f64 v[6:7], v[176:177], v[30:31]
	v_fmac_f64_e32 v[172:173], v[218:219], v[156:157]
	v_add_f64 v[216:217], v[6:7], v[174:175]
	v_add_f64 v[6:7], v[30:31], v[174:175]
	v_fmac_f64_e32 v[176:177], -0.5, v[6:7]
	v_add_f64 v[6:7], v[172:173], -v[200:201]
	v_mul_f64 v[230:231], v[220:221], v[166:167]
	v_fma_f64 v[220:221], s[0:1], v[6:7], v[176:177]
	v_fmac_f64_e32 v[176:177], s[8:9], v[6:7]
	v_add_f64 v[6:7], v[178:179], v[172:173]
	v_add_f64 v[218:219], v[6:7], v[200:201]
	;; [unrolled: 1-line block ×3, first 2 shown]
	v_fmac_f64_e32 v[178:179], -0.5, v[6:7]
	v_add_f64 v[6:7], v[30:31], -v[174:175]
	v_fmac_f64_e32 v[230:231], v[222:223], v[164:165]
	v_mul_f64 v[240:241], v[224:225], v[162:163]
	v_fma_f64 v[222:223], s[8:9], v[6:7], v[178:179]
	v_fmac_f64_e32 v[178:179], s[0:1], v[6:7]
	v_add_f64 v[6:7], v[168:169], v[228:229]
	v_fmac_f64_e32 v[240:241], v[226:227], v[160:161]
	v_add_f64 v[224:225], v[6:7], v[238:239]
	v_add_f64 v[6:7], v[228:229], v[238:239]
	v_fmac_f64_e32 v[168:169], -0.5, v[6:7]
	v_add_f64 v[6:7], v[230:231], -v[240:241]
	v_fma_f64 v[172:173], s[0:1], v[6:7], v[168:169]
	v_fmac_f64_e32 v[168:169], s[8:9], v[6:7]
	v_add_f64 v[6:7], v[170:171], v[230:231]
	v_add_f64 v[226:227], v[6:7], v[240:241]
	v_add_f64 v[6:7], v[230:231], v[240:241]
	v_add_f64 v[188:189], v[188:189], v[10:11]
	v_add_f64 v[190:191], v[190:191], v[12:13]
	v_fmac_f64_e32 v[170:171], -0.5, v[6:7]
	v_add_f64 v[6:7], v[228:229], -v[238:239]
	v_fma_f64 v[174:175], s[8:9], v[6:7], v[170:171]
	v_fmac_f64_e32 v[170:171], s[0:1], v[6:7]
	ds_write_b128 v237, v[188:191]
	ds_write_b128 v233, v[192:195] offset:1040
	ds_write_b128 v233, v[0:3] offset:2080
	ds_write_b128 v233, v[196:199] offset:208
	ds_write_b128 v233, v[204:207] offset:1248
	ds_write_b128 v233, v[184:187] offset:2288
	ds_write_b128 v233, v[208:211] offset:416
	ds_write_b128 v233, v[212:215] offset:1456
	ds_write_b128 v233, v[180:183] offset:2496
	ds_write_b128 v233, v[216:219] offset:624
	ds_write_b128 v233, v[220:223] offset:1664
	ds_write_b128 v233, v[176:179] offset:2704
	ds_write_b128 v233, v[224:227] offset:832
	ds_write_b128 v237, v[172:175] offset:1872
	ds_write_b128 v237, v[168:171] offset:2912
	s_waitcnt lgkmcnt(0)
	; wave barrier
	s_waitcnt lgkmcnt(0)
	global_load_dwordx4 v[176:179], v[234:235], off offset:3120
	s_add_u32 s8, s12, 0xc30
	s_addc_u32 s9, s13, 0
	global_load_dwordx4 v[180:183], v202, s[8:9] offset:240
	global_load_dwordx4 v[184:187], v202, s[8:9] offset:480
	;; [unrolled: 1-line block ×12, first 2 shown]
	ds_read_b128 v[228:231], v237
	ds_read_b128 v[238:241], v237 offset:240
	s_waitcnt vmcnt(12) lgkmcnt(1)
	v_mul_f64 v[6:7], v[230:231], v[178:179]
	v_mul_f64 v[244:245], v[228:229], v[178:179]
	v_fma_f64 v[242:243], v[228:229], v[176:177], -v[6:7]
	v_fmac_f64_e32 v[244:245], v[230:231], v[176:177]
	ds_read_b128 v[228:231], v237 offset:480
	s_waitcnt vmcnt(11) lgkmcnt(1)
	v_mul_f64 v[6:7], v[240:241], v[182:183]
	v_mul_f64 v[178:179], v[238:239], v[182:183]
	v_fma_f64 v[176:177], v[238:239], v[180:181], -v[6:7]
	v_fmac_f64_e32 v[178:179], v[240:241], v[180:181]
	ds_write_b128 v237, v[176:179] offset:240
	ds_read_b128 v[176:179], v237 offset:720
	s_waitcnt vmcnt(10) lgkmcnt(2)
	v_mul_f64 v[6:7], v[230:231], v[186:187]
	v_mul_f64 v[182:183], v[228:229], v[186:187]
	v_fma_f64 v[180:181], v[228:229], v[184:185], -v[6:7]
	v_fmac_f64_e32 v[182:183], v[230:231], v[184:185]
	ds_read_b128 v[184:187], v237 offset:960
	ds_write_b128 v237, v[180:183] offset:480
	s_waitcnt vmcnt(9) lgkmcnt(2)
	v_mul_f64 v[6:7], v[178:179], v[190:191]
	v_mul_f64 v[182:183], v[176:177], v[190:191]
	v_fma_f64 v[180:181], v[176:177], v[188:189], -v[6:7]
	v_fmac_f64_e32 v[182:183], v[178:179], v[188:189]
	ds_read_b128 v[176:179], v237 offset:1200
	ds_write_b128 v237, v[180:183] offset:720
	;; [unrolled: 7-line block ×4, first 2 shown]
	s_waitcnt vmcnt(6) lgkmcnt(3)
	v_mul_f64 v[6:7], v[186:187], v[2:3]
	v_mul_f64 v[182:183], v[184:185], v[2:3]
	v_fma_f64 v[180:181], v[184:185], v[0:1], -v[6:7]
	v_fmac_f64_e32 v[182:183], v[186:187], v[0:1]
	ds_write_b128 v237, v[180:183] offset:1440
	ds_read_b128 v[180:183], v237 offset:1920
	s_waitcnt vmcnt(5) lgkmcnt(3)
	v_mul_f64 v[0:1], v[178:179], v[206:207]
	v_mul_f64 v[2:3], v[176:177], v[206:207]
	v_fma_f64 v[0:1], v[176:177], v[204:205], -v[0:1]
	v_fmac_f64_e32 v[2:3], v[178:179], v[204:205]
	ds_write_b128 v237, v[0:3] offset:1680
	ds_read_b128 v[0:3], v237 offset:2160
	s_waitcnt vmcnt(4) lgkmcnt(2)
	v_mul_f64 v[6:7], v[182:183], v[210:211]
	v_mul_f64 v[178:179], v[180:181], v[210:211]
	v_fma_f64 v[176:177], v[180:181], v[208:209], -v[6:7]
	v_fmac_f64_e32 v[178:179], v[182:183], v[208:209]
	ds_read_b128 v[180:183], v237 offset:2400
	ds_write_b128 v237, v[176:179] offset:1920
	s_waitcnt vmcnt(3) lgkmcnt(2)
	v_mul_f64 v[6:7], v[2:3], v[214:215]
	v_mul_f64 v[178:179], v[0:1], v[214:215]
	v_fma_f64 v[176:177], v[0:1], v[212:213], -v[6:7]
	v_fmac_f64_e32 v[178:179], v[2:3], v[212:213]
	ds_read_b128 v[0:3], v237 offset:2640
	ds_write_b128 v237, v[176:179] offset:2160
	s_waitcnt vmcnt(2) lgkmcnt(3)
	v_mul_f64 v[6:7], v[182:183], v[218:219]
	v_mul_f64 v[178:179], v[180:181], v[218:219]
	v_fma_f64 v[176:177], v[180:181], v[216:217], -v[6:7]
	v_fmac_f64_e32 v[178:179], v[182:183], v[216:217]
	ds_write_b128 v237, v[176:179] offset:2400
	ds_read_b128 v[176:179], v237 offset:2880
	s_waitcnt vmcnt(1) lgkmcnt(3)
	v_mul_f64 v[6:7], v[2:3], v[222:223]
	v_mul_f64 v[182:183], v[0:1], v[222:223]
	v_fma_f64 v[180:181], v[0:1], v[220:221], -v[6:7]
	v_fmac_f64_e32 v[182:183], v[2:3], v[220:221]
	s_waitcnt vmcnt(0) lgkmcnt(0)
	v_mul_f64 v[0:1], v[178:179], v[226:227]
	v_mul_f64 v[2:3], v[176:177], v[226:227]
	v_fma_f64 v[0:1], v[176:177], v[224:225], -v[0:1]
	v_fmac_f64_e32 v[2:3], v[178:179], v[224:225]
	ds_write_b128 v237, v[242:245]
	ds_write_b128 v237, v[180:183] offset:2640
	ds_write_b128 v237, v[0:3] offset:2880
	s_and_saveexec_b64 s[0:1], vcc
	s_cbranch_execz .LBB0_9
; %bb.8:
	v_lshl_add_u64 v[176:177], s[8:9], 0, v[202:203]
	global_load_dwordx4 v[178:181], v[176:177], off offset:208
	ds_read_b128 v[0:3], v233 offset:208
	s_waitcnt vmcnt(0) lgkmcnt(0)
	v_mul_f64 v[6:7], v[2:3], v[180:181]
	v_mul_f64 v[184:185], v[0:1], v[180:181]
	v_fma_f64 v[182:183], v[0:1], v[178:179], -v[6:7]
	v_fmac_f64_e32 v[184:185], v[2:3], v[178:179]
	global_load_dwordx4 v[178:181], v[176:177], off offset:448
	ds_write_b128 v233, v[182:185] offset:208
	ds_read_b128 v[0:3], v237 offset:448
	s_waitcnt vmcnt(0) lgkmcnt(0)
	v_mul_f64 v[6:7], v[2:3], v[180:181]
	v_mul_f64 v[184:185], v[0:1], v[180:181]
	v_fma_f64 v[182:183], v[0:1], v[178:179], -v[6:7]
	v_fmac_f64_e32 v[184:185], v[2:3], v[178:179]
	global_load_dwordx4 v[178:181], v[176:177], off offset:688
	ds_read_b128 v[0:3], v237 offset:688
	ds_write_b128 v237, v[182:185] offset:448
	s_waitcnt vmcnt(0) lgkmcnt(1)
	v_mul_f64 v[6:7], v[2:3], v[180:181]
	v_mul_f64 v[184:185], v[0:1], v[180:181]
	v_fma_f64 v[182:183], v[0:1], v[178:179], -v[6:7]
	v_fmac_f64_e32 v[184:185], v[2:3], v[178:179]
	global_load_dwordx4 v[178:181], v[176:177], off offset:928
	ds_read_b128 v[0:3], v237 offset:928
	ds_write_b128 v237, v[182:185] offset:688
	;; [unrolled: 8-line block ×11, first 2 shown]
	s_waitcnt vmcnt(0) lgkmcnt(1)
	v_mul_f64 v[6:7], v[2:3], v[178:179]
	v_mul_f64 v[182:183], v[0:1], v[178:179]
	v_fma_f64 v[180:181], v[0:1], v[176:177], -v[6:7]
	v_fmac_f64_e32 v[182:183], v[2:3], v[176:177]
	ds_write_b128 v237, v[180:183] offset:3088
.LBB0_9:
	s_or_b64 exec, exec, s[0:1]
	s_waitcnt lgkmcnt(0)
	; wave barrier
	s_waitcnt lgkmcnt(0)
	ds_read_b128 v[216:219], v237
	ds_read_b128 v[224:227], v237 offset:240
	ds_read_b128 v[212:215], v237 offset:480
	;; [unrolled: 1-line block ×12, first 2 shown]
	s_and_saveexec_b64 s[0:1], vcc
	s_cbranch_execz .LBB0_11
; %bb.10:
	ds_read_b128 v[172:175], v233 offset:208
	ds_read_b128 v[168:171], v233 offset:448
	;; [unrolled: 1-line block ×13, first 2 shown]
.LBB0_11:
	s_or_b64 exec, exec, s[0:1]
	s_waitcnt lgkmcnt(11)
	v_add_f64 v[0:1], v[216:217], v[224:225]
	v_add_f64 v[2:3], v[218:219], v[226:227]
	s_waitcnt lgkmcnt(10)
	v_add_f64 v[0:1], v[0:1], v[212:213]
	v_add_f64 v[2:3], v[2:3], v[214:215]
	;; [unrolled: 3-line block ×10, first 2 shown]
	s_mov_b32 s10, 0x4267c47c
	s_mov_b32 s14, 0x42a4c3d2
	;; [unrolled: 1-line block ×6, first 2 shown]
	s_waitcnt lgkmcnt(1)
	v_add_f64 v[0:1], v[0:1], v[220:221]
	v_add_f64 v[2:3], v[2:3], v[222:223]
	s_waitcnt lgkmcnt(0)
	v_add_f64 v[8:9], v[226:227], -v[230:231]
	s_mov_b32 s11, 0xbfddbe06
	s_mov_b32 s0, 0xe00740e9
	;; [unrolled: 1-line block ×12, first 2 shown]
	v_add_f64 v[208:209], v[0:1], v[228:229]
	v_add_f64 v[210:211], v[2:3], v[230:231]
	v_add_f64 v[0:1], v[224:225], v[228:229]
	v_add_f64 v[2:3], v[226:227], v[230:231]
	v_add_f64 v[6:7], v[224:225], -v[228:229]
	v_mul_f64 v[10:11], v[8:9], s[10:11]
	s_mov_b32 s1, 0x3fec55a7
	v_mul_f64 v[20:21], v[8:9], s[14:15]
	s_mov_b32 s9, 0x3fe22d96
	;; [unrolled: 2-line block ×6, first 2 shown]
	v_fma_f64 v[12:13], s[0:1], v[0:1], v[10:11]
	v_mul_f64 v[14:15], v[2:3], s[0:1]
	s_mov_b32 s25, 0x3fddbe06
	s_mov_b32 s24, s10
	v_fma_f64 v[10:11], v[0:1], s[0:1], -v[10:11]
	v_fma_f64 v[22:23], s[8:9], v[0:1], v[20:21]
	v_mul_f64 v[24:25], v[2:3], s[8:9]
	s_mov_b32 s41, 0x3fea55e2
	s_mov_b32 s40, s14
	v_fma_f64 v[20:21], v[0:1], s[8:9], -v[20:21]
	;; [unrolled: 5-line block ×5, first 2 shown]
	v_fma_f64 v[250:251], s[26:27], v[0:1], v[8:9]
	v_mul_f64 v[2:3], v[2:3], s[26:27]
	s_mov_b32 s42, s30
	v_fma_f64 v[0:1], v[0:1], s[26:27], -v[8:9]
	v_add_f64 v[8:9], v[214:215], v[222:223]
	v_add_f64 v[214:215], v[214:215], -v[222:223]
	v_add_f64 v[12:13], v[216:217], v[12:13]
	v_fma_f64 v[16:17], s[24:25], v[6:7], v[14:15]
	v_add_f64 v[10:11], v[216:217], v[10:11]
	v_fmac_f64_e32 v[14:15], s[10:11], v[6:7]
	v_add_f64 v[22:23], v[216:217], v[22:23]
	v_fma_f64 v[26:27], s[40:41], v[6:7], v[24:25]
	v_add_f64 v[20:21], v[216:217], v[20:21]
	v_fmac_f64_e32 v[24:25], s[14:15], v[6:7]
	;; [unrolled: 4-line block ×6, first 2 shown]
	v_add_f64 v[6:7], v[212:213], v[220:221]
	v_mul_f64 v[216:217], v[214:215], s[14:15]
	v_add_f64 v[16:17], v[218:219], v[16:17]
	v_add_f64 v[14:15], v[218:219], v[14:15]
	;; [unrolled: 1-line block ×12, first 2 shown]
	v_fma_f64 v[218:219], s[8:9], v[6:7], v[216:217]
	v_add_f64 v[212:213], v[212:213], -v[220:221]
	v_add_f64 v[12:13], v[218:219], v[12:13]
	v_mul_f64 v[218:219], v[8:9], s[8:9]
	v_fma_f64 v[216:217], v[6:7], s[8:9], -v[216:217]
	v_fma_f64 v[220:221], s[40:41], v[212:213], v[218:219]
	v_add_f64 v[10:11], v[216:217], v[10:11]
	v_fmac_f64_e32 v[218:219], s[14:15], v[212:213]
	v_mul_f64 v[216:217], v[214:215], s[22:23]
	v_add_f64 v[14:15], v[218:219], v[14:15]
	v_fma_f64 v[218:219], s[16:17], v[6:7], v[216:217]
	v_add_f64 v[22:23], v[218:219], v[22:23]
	v_mul_f64 v[218:219], v[8:9], s[16:17]
	v_fma_f64 v[216:217], v[6:7], s[16:17], -v[216:217]
	v_add_f64 v[16:17], v[220:221], v[16:17]
	v_fma_f64 v[220:221], s[38:39], v[212:213], v[218:219]
	v_add_f64 v[20:21], v[216:217], v[20:21]
	v_fmac_f64_e32 v[218:219], s[22:23], v[212:213]
	v_mul_f64 v[216:217], v[214:215], s[30:31]
	v_add_f64 v[24:25], v[218:219], v[24:25]
	v_fma_f64 v[218:219], s[26:27], v[6:7], v[216:217]
	v_add_f64 v[30:31], v[218:219], v[30:31]
	v_mul_f64 v[218:219], v[8:9], s[26:27]
	v_add_f64 v[26:27], v[220:221], v[26:27]
	v_fma_f64 v[220:221], s[42:43], v[212:213], v[218:219]
	v_fma_f64 v[216:217], v[6:7], s[26:27], -v[216:217]
	v_fmac_f64_e32 v[218:219], s[30:31], v[212:213]
	v_add_f64 v[28:29], v[216:217], v[28:29]
	v_add_f64 v[216:217], v[218:219], v[224:225]
	v_mul_f64 v[218:219], v[214:215], s[36:37]
	v_fma_f64 v[222:223], s[20:21], v[6:7], v[218:219]
	v_mul_f64 v[224:225], v[8:9], s[20:21]
	v_fma_f64 v[218:219], v[6:7], s[20:21], -v[218:219]
	v_add_f64 v[220:221], v[220:221], v[226:227]
	v_fma_f64 v[226:227], s[28:29], v[212:213], v[224:225]
	v_add_f64 v[218:219], v[218:219], v[228:229]
	v_fmac_f64_e32 v[224:225], s[36:37], v[212:213]
	v_mul_f64 v[228:229], v[214:215], s[34:35]
	v_add_f64 v[222:223], v[222:223], v[230:231]
	v_add_f64 v[224:225], v[224:225], v[238:239]
	v_fma_f64 v[230:231], s[12:13], v[6:7], v[228:229]
	v_mul_f64 v[238:239], v[8:9], s[12:13]
	v_mul_f64 v[8:9], v[8:9], s[0:1]
	v_add_f64 v[230:231], v[230:231], v[244:245]
	v_fma_f64 v[228:229], v[6:7], s[12:13], -v[228:229]
	v_mul_f64 v[214:215], v[214:215], s[24:25]
	v_fma_f64 v[244:245], s[10:11], v[212:213], v[8:9]
	v_fmac_f64_e32 v[8:9], s[24:25], v[212:213]
	v_add_f64 v[228:229], v[228:229], v[242:243]
	v_fma_f64 v[242:243], s[0:1], v[6:7], v[214:215]
	v_fma_f64 v[6:7], v[6:7], s[0:1], -v[214:215]
	v_add_f64 v[2:3], v[8:9], v[2:3]
	v_add_f64 v[8:9], v[202:203], v[206:207]
	v_add_f64 v[202:203], v[202:203], -v[206:207]
	v_add_f64 v[0:1], v[6:7], v[0:1]
	v_add_f64 v[6:7], v[200:201], v[204:205]
	v_add_f64 v[200:201], v[200:201], -v[204:205]
	v_mul_f64 v[204:205], v[202:203], s[18:19]
	v_fma_f64 v[206:207], s[12:13], v[6:7], v[204:205]
	v_add_f64 v[12:13], v[206:207], v[12:13]
	v_mul_f64 v[206:207], v[8:9], s[12:13]
	v_fma_f64 v[204:205], v[6:7], s[12:13], -v[204:205]
	v_add_f64 v[226:227], v[226:227], v[240:241]
	v_fma_f64 v[240:241], s[18:19], v[212:213], v[238:239]
	v_fmac_f64_e32 v[238:239], s[34:35], v[212:213]
	v_fma_f64 v[212:213], s[34:35], v[200:201], v[206:207]
	v_add_f64 v[10:11], v[204:205], v[10:11]
	v_fmac_f64_e32 v[206:207], s[18:19], v[200:201]
	v_mul_f64 v[204:205], v[202:203], s[30:31]
	v_add_f64 v[14:15], v[206:207], v[14:15]
	v_fma_f64 v[206:207], s[26:27], v[6:7], v[204:205]
	v_add_f64 v[22:23], v[206:207], v[22:23]
	v_mul_f64 v[206:207], v[8:9], s[26:27]
	v_fma_f64 v[204:205], v[6:7], s[26:27], -v[204:205]
	v_add_f64 v[16:17], v[212:213], v[16:17]
	v_fma_f64 v[212:213], s[42:43], v[200:201], v[206:207]
	v_add_f64 v[20:21], v[204:205], v[20:21]
	v_fmac_f64_e32 v[206:207], s[30:31], v[200:201]
	v_mul_f64 v[204:205], v[202:203], s[38:39]
	v_add_f64 v[24:25], v[206:207], v[24:25]
	v_fma_f64 v[206:207], s[16:17], v[6:7], v[204:205]
	v_add_f64 v[30:31], v[206:207], v[30:31]
	v_mul_f64 v[206:207], v[8:9], s[16:17]
	v_add_f64 v[26:27], v[212:213], v[26:27]
	v_fma_f64 v[212:213], s[22:23], v[200:201], v[206:207]
	v_fma_f64 v[204:205], v[6:7], s[16:17], -v[204:205]
	v_fmac_f64_e32 v[206:207], s[38:39], v[200:201]
	v_add_f64 v[28:29], v[204:205], v[28:29]
	v_add_f64 v[204:205], v[206:207], v[216:217]
	v_mul_f64 v[206:207], v[202:203], s[24:25]
	v_fma_f64 v[214:215], s[0:1], v[6:7], v[206:207]
	v_mul_f64 v[216:217], v[8:9], s[0:1]
	v_fma_f64 v[206:207], v[6:7], s[0:1], -v[206:207]
	v_add_f64 v[212:213], v[212:213], v[220:221]
	v_fma_f64 v[220:221], s[10:11], v[200:201], v[216:217]
	v_add_f64 v[206:207], v[206:207], v[218:219]
	v_fmac_f64_e32 v[216:217], s[24:25], v[200:201]
	v_mul_f64 v[218:219], v[202:203], s[14:15]
	v_add_f64 v[214:215], v[214:215], v[222:223]
	v_add_f64 v[216:217], v[216:217], v[224:225]
	v_fma_f64 v[222:223], s[8:9], v[6:7], v[218:219]
	v_mul_f64 v[224:225], v[8:9], s[8:9]
	v_mul_f64 v[8:9], v[8:9], s[20:21]
	v_add_f64 v[222:223], v[222:223], v[230:231]
	v_fma_f64 v[218:219], v[6:7], s[8:9], -v[218:219]
	v_mul_f64 v[202:203], v[202:203], s[28:29]
	v_fma_f64 v[230:231], s[36:37], v[200:201], v[8:9]
	v_fmac_f64_e32 v[8:9], s[28:29], v[200:201]
	v_add_f64 v[218:219], v[218:219], v[228:229]
	v_fma_f64 v[228:229], s[20:21], v[6:7], v[202:203]
	v_fma_f64 v[6:7], v[6:7], s[20:21], -v[202:203]
	v_add_f64 v[2:3], v[8:9], v[2:3]
	v_add_f64 v[8:9], v[194:195], v[198:199]
	v_add_f64 v[194:195], v[194:195], -v[198:199]
	v_add_f64 v[0:1], v[6:7], v[0:1]
	v_add_f64 v[6:7], v[192:193], v[196:197]
	v_add_f64 v[192:193], v[192:193], -v[196:197]
	v_mul_f64 v[196:197], v[194:195], s[22:23]
	v_fma_f64 v[198:199], s[16:17], v[6:7], v[196:197]
	v_add_f64 v[12:13], v[198:199], v[12:13]
	v_mul_f64 v[198:199], v[8:9], s[16:17]
	v_fma_f64 v[196:197], v[6:7], s[16:17], -v[196:197]
	v_add_f64 v[220:221], v[220:221], v[226:227]
	v_fma_f64 v[226:227], s[40:41], v[200:201], v[224:225]
	v_fmac_f64_e32 v[224:225], s[14:15], v[200:201]
	v_fma_f64 v[200:201], s[38:39], v[192:193], v[198:199]
	v_add_f64 v[10:11], v[196:197], v[10:11]
	v_fmac_f64_e32 v[198:199], s[22:23], v[192:193]
	v_mul_f64 v[196:197], v[194:195], s[36:37]
	v_add_f64 v[14:15], v[198:199], v[14:15]
	v_fma_f64 v[198:199], s[20:21], v[6:7], v[196:197]
	v_add_f64 v[22:23], v[198:199], v[22:23]
	v_mul_f64 v[198:199], v[8:9], s[20:21]
	v_fma_f64 v[196:197], v[6:7], s[20:21], -v[196:197]
	v_add_f64 v[16:17], v[200:201], v[16:17]
	v_fma_f64 v[200:201], s[28:29], v[192:193], v[198:199]
	v_add_f64 v[20:21], v[196:197], v[20:21]
	v_fmac_f64_e32 v[198:199], s[36:37], v[192:193]
	v_mul_f64 v[196:197], v[194:195], s[24:25]
	v_add_f64 v[24:25], v[198:199], v[24:25]
	v_fma_f64 v[198:199], s[0:1], v[6:7], v[196:197]
	v_add_f64 v[30:31], v[198:199], v[30:31]
	v_mul_f64 v[198:199], v[8:9], s[0:1]
	v_add_f64 v[26:27], v[200:201], v[26:27]
	v_fma_f64 v[200:201], s[10:11], v[192:193], v[198:199]
	v_fma_f64 v[196:197], v[6:7], s[0:1], -v[196:197]
	v_fmac_f64_e32 v[198:199], s[24:25], v[192:193]
	v_add_f64 v[28:29], v[196:197], v[28:29]
	v_add_f64 v[196:197], v[198:199], v[204:205]
	v_mul_f64 v[198:199], v[194:195], s[18:19]
	v_fma_f64 v[202:203], s[12:13], v[6:7], v[198:199]
	v_mul_f64 v[204:205], v[8:9], s[12:13]
	v_fma_f64 v[198:199], v[6:7], s[12:13], -v[198:199]
	v_add_f64 v[200:201], v[200:201], v[212:213]
	v_fma_f64 v[212:213], s[34:35], v[192:193], v[204:205]
	v_add_f64 v[198:199], v[198:199], v[206:207]
	v_fmac_f64_e32 v[204:205], s[18:19], v[192:193]
	v_mul_f64 v[206:207], v[194:195], s[42:43]
	v_add_f64 v[202:203], v[202:203], v[214:215]
	v_add_f64 v[204:205], v[204:205], v[216:217]
	v_fma_f64 v[214:215], s[26:27], v[6:7], v[206:207]
	v_mul_f64 v[216:217], v[8:9], s[26:27]
	v_mul_f64 v[8:9], v[8:9], s[8:9]
	v_add_f64 v[214:215], v[214:215], v[222:223]
	v_fma_f64 v[206:207], v[6:7], s[26:27], -v[206:207]
	v_mul_f64 v[194:195], v[194:195], s[40:41]
	v_fma_f64 v[222:223], s[14:15], v[192:193], v[8:9]
	v_fmac_f64_e32 v[8:9], s[40:41], v[192:193]
	v_add_f64 v[206:207], v[206:207], v[218:219]
	v_fma_f64 v[218:219], s[8:9], v[6:7], v[194:195]
	v_fma_f64 v[6:7], v[6:7], s[8:9], -v[194:195]
	v_add_f64 v[2:3], v[8:9], v[2:3]
	v_add_f64 v[8:9], v[186:187], v[190:191]
	v_add_f64 v[186:187], v[186:187], -v[190:191]
	v_add_f64 v[0:1], v[6:7], v[0:1]
	v_add_f64 v[6:7], v[184:185], v[188:189]
	v_add_f64 v[184:185], v[184:185], -v[188:189]
	v_mul_f64 v[188:189], v[186:187], s[28:29]
	v_fma_f64 v[190:191], s[20:21], v[6:7], v[188:189]
	v_add_f64 v[12:13], v[190:191], v[12:13]
	v_mul_f64 v[190:191], v[8:9], s[20:21]
	v_fma_f64 v[188:189], v[6:7], s[20:21], -v[188:189]
	v_add_f64 v[212:213], v[212:213], v[220:221]
	v_fma_f64 v[220:221], s[30:31], v[192:193], v[216:217]
	v_fmac_f64_e32 v[216:217], s[42:43], v[192:193]
	v_fma_f64 v[192:193], s[36:37], v[184:185], v[190:191]
	v_add_f64 v[10:11], v[188:189], v[10:11]
	v_fmac_f64_e32 v[190:191], s[28:29], v[184:185]
	v_mul_f64 v[188:189], v[186:187], s[34:35]
	v_add_f64 v[14:15], v[190:191], v[14:15]
	v_fma_f64 v[190:191], s[12:13], v[6:7], v[188:189]
	v_add_f64 v[22:23], v[190:191], v[22:23]
	v_mul_f64 v[190:191], v[8:9], s[12:13]
	v_fma_f64 v[188:189], v[6:7], s[12:13], -v[188:189]
	v_add_f64 v[16:17], v[192:193], v[16:17]
	v_fma_f64 v[192:193], s[18:19], v[184:185], v[190:191]
	v_add_f64 v[20:21], v[188:189], v[20:21]
	v_fmac_f64_e32 v[190:191], s[34:35], v[184:185]
	v_mul_f64 v[188:189], v[186:187], s[14:15]
	v_add_f64 v[24:25], v[190:191], v[24:25]
	v_fma_f64 v[190:191], s[8:9], v[6:7], v[188:189]
	v_add_f64 v[30:31], v[190:191], v[30:31]
	v_mul_f64 v[190:191], v[8:9], s[8:9]
	v_fma_f64 v[188:189], v[6:7], s[8:9], -v[188:189]
	v_add_f64 v[26:27], v[192:193], v[26:27]
	;; [unrolled: 10-line block ×3, first 2 shown]
	v_fma_f64 v[200:201], s[30:31], v[184:185], v[190:191]
	v_add_f64 v[202:203], v[188:189], v[198:199]
	v_fmac_f64_e32 v[190:191], s[42:43], v[184:185]
	v_mul_f64 v[188:189], v[186:187], s[24:25]
	v_add_f64 v[240:241], v[240:241], v[248:249]
	v_add_f64 v[244:245], v[244:245], v[252:253]
	;; [unrolled: 1-line block ×3, first 2 shown]
	v_fma_f64 v[190:191], s[0:1], v[6:7], v[188:189]
	v_add_f64 v[238:239], v[238:239], v[246:247]
	v_add_f64 v[242:243], v[242:243], v[250:251]
	;; [unrolled: 1-line block ×6, first 2 shown]
	v_mul_f64 v[190:191], v[8:9], s[0:1]
	v_add_f64 v[224:225], v[224:225], v[238:239]
	v_add_f64 v[228:229], v[228:229], v[242:243]
	;; [unrolled: 1-line block ×4, first 2 shown]
	v_fma_f64 v[198:199], s[10:11], v[184:185], v[190:191]
	v_fma_f64 v[188:189], v[6:7], s[0:1], -v[188:189]
	v_mul_f64 v[186:187], v[186:187], s[22:23]
	v_add_f64 v[230:231], v[178:179], -v[182:183]
	v_add_f64 v[216:217], v[216:217], v[224:225]
	v_add_f64 v[218:219], v[218:219], v[228:229]
	;; [unrolled: 1-line block ×4, first 2 shown]
	v_fma_f64 v[188:189], s[16:17], v[6:7], v[186:187]
	v_fma_f64 v[6:7], v[6:7], s[16:17], -v[186:187]
	v_add_f64 v[224:225], v[176:177], v[180:181]
	v_add_f64 v[228:229], v[176:177], -v[180:181]
	v_mul_f64 v[176:177], v[230:231], s[30:31]
	v_mul_f64 v[8:9], v[8:9], s[16:17]
	v_add_f64 v[6:7], v[6:7], v[0:1]
	v_add_f64 v[226:227], v[178:179], v[182:183]
	v_fma_f64 v[0:1], s[26:27], v[224:225], v[176:177]
	v_add_f64 v[218:219], v[188:189], v[218:219]
	v_fma_f64 v[188:189], s[38:39], v[184:185], v[8:9]
	v_fmac_f64_e32 v[8:9], s[22:23], v[184:185]
	v_add_f64 v[0:1], v[0:1], v[12:13]
	v_mul_f64 v[12:13], v[226:227], s[26:27]
	v_add_f64 v[8:9], v[8:9], v[2:3]
	v_fma_f64 v[2:3], s[42:43], v[228:229], v[12:13]
	v_add_f64 v[2:3], v[2:3], v[16:17]
	v_fma_f64 v[16:17], v[224:225], s[26:27], -v[176:177]
	v_add_f64 v[176:177], v[16:17], v[10:11]
	v_fmac_f64_e32 v[12:13], s[30:31], v[228:229]
	v_mul_f64 v[10:11], v[230:231], s[24:25]
	v_add_f64 v[178:179], v[12:13], v[14:15]
	v_fma_f64 v[12:13], s[0:1], v[224:225], v[10:11]
	v_add_f64 v[180:181], v[12:13], v[22:23]
	v_mul_f64 v[12:13], v[226:227], s[0:1]
	v_fma_f64 v[10:11], v[224:225], s[0:1], -v[10:11]
	v_fmac_f64_e32 v[190:191], s[24:25], v[184:185]
	v_fma_f64 v[14:15], s[10:11], v[228:229], v[12:13]
	v_add_f64 v[184:185], v[10:11], v[20:21]
	v_fmac_f64_e32 v[12:13], s[24:25], v[228:229]
	v_mul_f64 v[10:11], v[230:231], s[28:29]
	v_add_f64 v[186:187], v[12:13], v[24:25]
	v_fma_f64 v[12:13], s[20:21], v[224:225], v[10:11]
	v_add_f64 v[222:223], v[188:189], v[222:223]
	v_add_f64 v[188:189], v[12:13], v[30:31]
	v_mul_f64 v[12:13], v[226:227], s[20:21]
	v_add_f64 v[182:183], v[14:15], v[26:27]
	v_fma_f64 v[14:15], s[36:37], v[228:229], v[12:13]
	v_fma_f64 v[10:11], v[224:225], s[20:21], -v[10:11]
	v_add_f64 v[216:217], v[190:191], v[216:217]
	v_add_f64 v[190:191], v[14:15], v[192:193]
	;; [unrolled: 1-line block ×3, first 2 shown]
	v_fmac_f64_e32 v[12:13], s[28:29], v[228:229]
	v_mul_f64 v[10:11], v[230:231], s[40:41]
	v_add_f64 v[194:195], v[12:13], v[194:195]
	v_fma_f64 v[12:13], s[8:9], v[224:225], v[10:11]
	v_add_f64 v[196:197], v[12:13], v[196:197]
	v_mul_f64 v[12:13], v[226:227], s[8:9]
	v_fma_f64 v[14:15], s[14:15], v[228:229], v[12:13]
	v_fma_f64 v[10:11], v[224:225], s[8:9], -v[10:11]
	v_add_f64 v[198:199], v[14:15], v[200:201]
	v_add_f64 v[200:201], v[10:11], v[202:203]
	v_fmac_f64_e32 v[12:13], s[40:41], v[228:229]
	v_mul_f64 v[10:11], v[230:231], s[22:23]
	v_add_f64 v[202:203], v[12:13], v[204:205]
	v_fma_f64 v[12:13], s[16:17], v[224:225], v[10:11]
	v_add_f64 v[204:205], v[12:13], v[212:213]
	v_mul_f64 v[12:13], v[226:227], s[16:17]
	v_fma_f64 v[10:11], v[224:225], s[16:17], -v[10:11]
	v_fma_f64 v[14:15], s[38:39], v[228:229], v[12:13]
	v_add_f64 v[212:213], v[10:11], v[220:221]
	v_fmac_f64_e32 v[12:13], s[22:23], v[228:229]
	v_mul_f64 v[10:11], v[230:231], s[34:35]
	v_add_f64 v[206:207], v[14:15], v[214:215]
	v_add_f64 v[214:215], v[12:13], v[216:217]
	v_fma_f64 v[12:13], s[12:13], v[224:225], v[10:11]
	v_add_f64 v[216:217], v[12:13], v[218:219]
	v_mul_f64 v[12:13], v[226:227], s[12:13]
	v_add_u32_e32 v254, 0x340, v237
	v_fma_f64 v[14:15], s[18:19], v[228:229], v[12:13]
	v_fma_f64 v[10:11], v[224:225], s[12:13], -v[10:11]
	v_fmac_f64_e32 v[12:13], s[34:35], v[228:229]
	v_add_f64 v[218:219], v[14:15], v[222:223]
	v_add_f64 v[220:221], v[10:11], v[6:7]
	;; [unrolled: 1-line block ×3, first 2 shown]
	s_waitcnt lgkmcnt(0)
	; wave barrier
	ds_write_b128 v5, v[208:211]
	ds_write_b128 v5, v[0:3] offset:16
	ds_write_b128 v5, v[180:183] offset:32
	;; [unrolled: 1-line block ×12, first 2 shown]
	s_and_saveexec_b64 s[44:45], vcc
	s_cbranch_execz .LBB0_13
; %bb.12:
	v_add_f64 v[244:245], v[168:169], -v[56:57]
	v_add_f64 v[242:243], v[52:53], -v[64:65]
	v_mul_f64 v[24:25], v[244:245], s[30:31]
	v_add_f64 v[214:215], v[170:171], v[58:59]
	v_add_f64 v[240:241], v[60:61], -v[72:73]
	v_mul_f64 v[20:21], v[242:243], s[24:25]
	v_add_f64 v[212:213], v[54:55], v[66:67]
	v_fma_f64 v[26:27], s[26:27], v[214:215], v[24:25]
	v_add_f64 v[238:239], v[68:69], -v[80:81]
	v_mul_f64 v[14:15], v[240:241], s[28:29]
	v_add_f64 v[210:211], v[62:63], v[74:75]
	v_fma_f64 v[22:23], s[0:1], v[212:213], v[20:21]
	v_add_f64 v[26:27], v[174:175], v[26:27]
	v_add_f64 v[230:231], v[76:77], -v[84:85]
	v_mul_f64 v[10:11], v[238:239], s[40:41]
	v_add_f64 v[208:209], v[70:71], v[82:83]
	v_fma_f64 v[16:17], s[20:21], v[210:211], v[14:15]
	v_add_f64 v[22:23], v[22:23], v[26:27]
	;; [unrolled: 5-line block ×3, first 2 shown]
	v_mul_f64 v[2:3], v[228:229], s[34:35]
	v_add_f64 v[204:205], v[90:91], v[94:95]
	v_fma_f64 v[8:9], s[16:17], v[206:207], v[6:7]
	v_add_f64 v[12:13], v[12:13], v[16:17]
	v_fma_f64 v[0:1], s[12:13], v[204:205], v[2:3]
	v_add_f64 v[8:9], v[8:9], v[12:13]
	v_add_f64 v[178:179], v[0:1], v[8:9]
	v_add_f64 v[0:1], v[170:171], -v[58:59]
	v_accvgpr_write_b32 a54, v254
	v_add_f64 v[254:255], v[54:55], -v[66:67]
	v_add_f64 v[226:227], v[168:169], v[56:57]
	v_mul_f64 v[184:185], v[0:1], s[30:31]
	v_add_f64 v[252:253], v[62:63], -v[74:75]
	v_add_f64 v[224:225], v[52:53], v[64:65]
	v_mul_f64 v[180:181], v[254:255], s[24:25]
	v_fma_f64 v[186:187], v[226:227], s[26:27], -v[184:185]
	v_add_f64 v[250:251], v[70:71], -v[82:83]
	v_add_f64 v[222:223], v[60:61], v[72:73]
	v_mul_f64 v[30:31], v[252:253], s[28:29]
	v_fma_f64 v[182:183], v[224:225], s[0:1], -v[180:181]
	v_add_f64 v[186:187], v[172:173], v[186:187]
	v_add_f64 v[248:249], v[78:79], -v[86:87]
	v_add_f64 v[220:221], v[68:69], v[80:81]
	v_mul_f64 v[26:27], v[250:251], s[40:41]
	v_fma_f64 v[176:177], v[222:223], s[20:21], -v[30:31]
	v_add_f64 v[182:183], v[182:183], v[186:187]
	;; [unrolled: 5-line block ×3, first 2 shown]
	v_add_f64 v[216:217], v[88:89], v[92:93]
	v_mul_f64 v[8:9], v[246:247], s[34:35]
	v_fma_f64 v[22:23], v[218:219], s[16:17], -v[16:17]
	v_add_f64 v[28:29], v[28:29], v[176:177]
	v_fma_f64 v[12:13], v[216:217], s[12:13], -v[8:9]
	v_add_f64 v[22:23], v[22:23], v[28:29]
	v_add_f64 v[176:177], v[12:13], v[22:23]
	v_fma_f64 v[12:13], v[210:211], s[20:21], -v[14:15]
	v_fma_f64 v[14:15], v[212:213], s[0:1], -v[20:21]
	;; [unrolled: 1-line block ×3, first 2 shown]
	v_add_f64 v[20:21], v[174:175], v[20:21]
	v_add_f64 v[14:15], v[14:15], v[20:21]
	v_fma_f64 v[10:11], v[208:209], s[8:9], -v[10:11]
	v_add_f64 v[12:13], v[12:13], v[14:15]
	v_fma_f64 v[6:7], v[206:207], s[16:17], -v[6:7]
	;; [unrolled: 2-line block ×3, first 2 shown]
	v_add_f64 v[6:7], v[6:7], v[10:11]
	v_fmac_f64_e32 v[184:185], s[26:27], v[226:227]
	v_add_f64 v[182:183], v[2:3], v[6:7]
	v_fmac_f64_e32 v[180:181], s[0:1], v[224:225]
	;; [unrolled: 2-line block ×4, first 2 shown]
	v_add_f64 v[2:3], v[30:31], v[2:3]
	v_add_f64 v[2:3], v[26:27], v[2:3]
	v_mul_f64 v[26:27], v[244:245], s[28:29]
	v_fmac_f64_e32 v[16:17], s[16:17], v[218:219]
	v_mul_f64 v[22:23], v[242:243], s[34:35]
	v_fma_f64 v[28:29], s[20:21], v[214:215], v[26:27]
	v_add_f64 v[2:3], v[16:17], v[2:3]
	v_mul_f64 v[16:17], v[240:241], s[14:15]
	v_fma_f64 v[24:25], s[12:13], v[212:213], v[22:23]
	v_add_f64 v[28:29], v[174:175], v[28:29]
	v_mul_f64 v[192:193], v[0:1], s[28:29]
	v_fmac_f64_e32 v[8:9], s[12:13], v[216:217]
	v_mul_f64 v[12:13], v[238:239], s[42:43]
	v_fma_f64 v[20:21], s[8:9], v[210:211], v[16:17]
	v_add_f64 v[24:25], v[24:25], v[28:29]
	v_mul_f64 v[188:189], v[254:255], s[34:35]
	v_fma_f64 v[194:195], v[226:227], s[20:21], -v[192:193]
	v_add_f64 v[180:181], v[8:9], v[2:3]
	v_mul_f64 v[8:9], v[230:231], s[24:25]
	v_fma_f64 v[14:15], s[26:27], v[208:209], v[12:13]
	v_add_f64 v[20:21], v[20:21], v[24:25]
	v_mul_f64 v[30:31], v[252:253], s[14:15]
	v_fma_f64 v[190:191], v[224:225], s[12:13], -v[188:189]
	v_add_f64 v[194:195], v[172:173], v[194:195]
	;; [unrolled: 6-line block ×3, first 2 shown]
	v_fma_f64 v[6:7], s[16:17], v[204:205], v[2:3]
	v_add_f64 v[10:11], v[10:11], v[14:15]
	v_mul_f64 v[14:15], v[248:249], s[24:25]
	v_fma_f64 v[28:29], v[220:221], s[26:27], -v[24:25]
	v_add_f64 v[184:185], v[184:185], v[190:191]
	v_add_f64 v[186:187], v[6:7], v[10:11]
	v_mul_f64 v[6:7], v[246:247], s[22:23]
	v_fma_f64 v[20:21], v[218:219], s[0:1], -v[14:15]
	v_add_f64 v[28:29], v[28:29], v[184:185]
	v_fma_f64 v[10:11], v[216:217], s[16:17], -v[6:7]
	v_add_f64 v[20:21], v[20:21], v[28:29]
	v_add_f64 v[184:185], v[10:11], v[20:21]
	v_fma_f64 v[20:21], v[214:215], s[20:21], -v[26:27]
	v_fma_f64 v[10:11], v[208:209], s[26:27], -v[12:13]
	;; [unrolled: 1-line block ×4, first 2 shown]
	v_add_f64 v[20:21], v[174:175], v[20:21]
	v_add_f64 v[16:17], v[16:17], v[20:21]
	;; [unrolled: 1-line block ×3, first 2 shown]
	v_fma_f64 v[8:9], v[206:207], s[0:1], -v[8:9]
	v_add_f64 v[10:11], v[10:11], v[12:13]
	v_fma_f64 v[2:3], v[204:205], s[16:17], -v[2:3]
	v_add_f64 v[8:9], v[8:9], v[10:11]
	v_fmac_f64_e32 v[192:193], s[20:21], v[226:227]
	v_add_f64 v[190:191], v[2:3], v[8:9]
	v_fmac_f64_e32 v[188:189], s[12:13], v[224:225]
	;; [unrolled: 2-line block ×3, first 2 shown]
	v_add_f64 v[2:3], v[188:189], v[2:3]
	v_mul_f64 v[26:27], v[244:245], s[22:23]
	v_fmac_f64_e32 v[24:25], s[26:27], v[220:221]
	v_add_f64 v[2:3], v[30:31], v[2:3]
	v_mul_f64 v[22:23], v[242:243], s[36:37]
	v_fma_f64 v[28:29], s[16:17], v[214:215], v[26:27]
	v_add_f64 v[2:3], v[24:25], v[2:3]
	v_mul_f64 v[16:17], v[240:241], s[24:25]
	v_fma_f64 v[24:25], s[20:21], v[212:213], v[22:23]
	v_add_f64 v[28:29], v[174:175], v[28:29]
	v_mul_f64 v[200:201], v[0:1], s[22:23]
	v_fmac_f64_e32 v[14:15], s[0:1], v[218:219]
	v_mul_f64 v[12:13], v[238:239], s[18:19]
	v_fma_f64 v[20:21], s[0:1], v[210:211], v[16:17]
	v_add_f64 v[24:25], v[24:25], v[28:29]
	v_mul_f64 v[196:197], v[254:255], s[36:37]
	v_fma_f64 v[202:203], v[226:227], s[16:17], -v[200:201]
	v_fmac_f64_e32 v[6:7], s[16:17], v[216:217]
	v_add_f64 v[2:3], v[14:15], v[2:3]
	v_mul_f64 v[8:9], v[230:231], s[42:43]
	v_fma_f64 v[14:15], s[12:13], v[208:209], v[12:13]
	v_add_f64 v[20:21], v[20:21], v[24:25]
	v_mul_f64 v[30:31], v[252:253], s[24:25]
	v_fma_f64 v[198:199], v[224:225], s[20:21], -v[196:197]
	v_add_f64 v[202:203], v[172:173], v[202:203]
	v_add_f64 v[188:189], v[6:7], v[2:3]
	v_mul_f64 v[2:3], v[228:229], s[40:41]
	v_fma_f64 v[10:11], s[26:27], v[206:207], v[8:9]
	v_add_f64 v[14:15], v[14:15], v[20:21]
	v_mul_f64 v[24:25], v[250:251], s[18:19]
	v_fma_f64 v[192:193], v[222:223], s[0:1], -v[30:31]
	v_add_f64 v[198:199], v[198:199], v[202:203]
	v_fma_f64 v[6:7], s[8:9], v[204:205], v[2:3]
	v_add_f64 v[10:11], v[10:11], v[14:15]
	v_mul_f64 v[14:15], v[248:249], s[42:43]
	v_fma_f64 v[28:29], v[220:221], s[12:13], -v[24:25]
	v_add_f64 v[192:193], v[192:193], v[198:199]
	v_add_f64 v[194:195], v[6:7], v[10:11]
	v_mul_f64 v[6:7], v[246:247], s[40:41]
	v_fma_f64 v[20:21], v[218:219], s[26:27], -v[14:15]
	v_add_f64 v[28:29], v[28:29], v[192:193]
	v_fma_f64 v[10:11], v[216:217], s[8:9], -v[6:7]
	v_add_f64 v[20:21], v[20:21], v[28:29]
	v_add_f64 v[192:193], v[10:11], v[20:21]
	v_fma_f64 v[20:21], v[214:215], s[16:17], -v[26:27]
	v_fma_f64 v[10:11], v[208:209], s[12:13], -v[12:13]
	v_fma_f64 v[12:13], v[210:211], s[0:1], -v[16:17]
	v_fma_f64 v[16:17], v[212:213], s[20:21], -v[22:23]
	v_add_f64 v[20:21], v[174:175], v[20:21]
	v_add_f64 v[16:17], v[16:17], v[20:21]
	;; [unrolled: 1-line block ×3, first 2 shown]
	v_fma_f64 v[8:9], v[206:207], s[26:27], -v[8:9]
	v_add_f64 v[10:11], v[10:11], v[12:13]
	v_fma_f64 v[2:3], v[204:205], s[8:9], -v[2:3]
	v_add_f64 v[8:9], v[8:9], v[10:11]
	v_fmac_f64_e32 v[200:201], s[16:17], v[226:227]
	v_add_f64 v[198:199], v[2:3], v[8:9]
	v_fmac_f64_e32 v[196:197], s[20:21], v[224:225]
	;; [unrolled: 2-line block ×3, first 2 shown]
	v_add_f64 v[2:3], v[196:197], v[2:3]
	v_mul_f64 v[26:27], v[244:245], s[18:19]
	v_fmac_f64_e32 v[24:25], s[12:13], v[220:221]
	v_add_f64 v[2:3], v[30:31], v[2:3]
	v_mul_f64 v[22:23], v[242:243], s[30:31]
	v_fma_f64 v[28:29], s[12:13], v[214:215], v[26:27]
	v_add_f64 v[2:3], v[24:25], v[2:3]
	v_mul_f64 v[16:17], v[240:241], s[38:39]
	v_fma_f64 v[24:25], s[26:27], v[212:213], v[22:23]
	v_add_f64 v[28:29], v[174:175], v[28:29]
	v_mul_f64 v[34:35], v[0:1], s[18:19]
	v_fmac_f64_e32 v[14:15], s[26:27], v[218:219]
	v_mul_f64 v[12:13], v[238:239], s[24:25]
	v_fma_f64 v[20:21], s[16:17], v[210:211], v[16:17]
	v_add_f64 v[24:25], v[24:25], v[28:29]
	v_mul_f64 v[18:19], v[254:255], s[30:31]
	v_accvgpr_write_b32 a53, v51
	v_fma_f64 v[36:37], v[226:227], s[12:13], -v[34:35]
	v_fmac_f64_e32 v[6:7], s[8:9], v[216:217]
	v_add_f64 v[2:3], v[14:15], v[2:3]
	v_mul_f64 v[8:9], v[230:231], s[14:15]
	v_fma_f64 v[14:15], s[0:1], v[208:209], v[12:13]
	v_add_f64 v[20:21], v[20:21], v[24:25]
	v_mul_f64 v[30:31], v[252:253], s[38:39]
	v_mov_b32_e32 v5, v32
	v_accvgpr_write_b32 a52, v50
	v_accvgpr_write_b32 a51, v49
	;; [unrolled: 1-line block ×3, first 2 shown]
	v_mov_b32_e32 v48, v33
	v_fma_f64 v[32:33], v[224:225], s[26:27], -v[18:19]
	v_add_f64 v[36:37], v[172:173], v[36:37]
	v_add_f64 v[196:197], v[6:7], v[2:3]
	v_mul_f64 v[2:3], v[228:229], s[28:29]
	v_fma_f64 v[10:11], s[8:9], v[206:207], v[8:9]
	v_add_f64 v[14:15], v[14:15], v[20:21]
	v_mul_f64 v[24:25], v[250:251], s[24:25]
	v_fma_f64 v[200:201], v[222:223], s[16:17], -v[30:31]
	v_add_f64 v[32:33], v[32:33], v[36:37]
	v_fma_f64 v[6:7], s[20:21], v[204:205], v[2:3]
	v_add_f64 v[10:11], v[10:11], v[14:15]
	v_mul_f64 v[14:15], v[248:249], s[14:15]
	v_fma_f64 v[28:29], v[220:221], s[0:1], -v[24:25]
	v_add_f64 v[32:33], v[200:201], v[32:33]
	v_add_f64 v[202:203], v[6:7], v[10:11]
	v_mul_f64 v[6:7], v[246:247], s[28:29]
	v_fma_f64 v[20:21], v[218:219], s[8:9], -v[14:15]
	v_add_f64 v[28:29], v[28:29], v[32:33]
	v_fma_f64 v[10:11], v[216:217], s[20:21], -v[6:7]
	v_add_f64 v[20:21], v[20:21], v[28:29]
	v_add_f64 v[200:201], v[10:11], v[20:21]
	v_fma_f64 v[20:21], v[214:215], s[12:13], -v[26:27]
	v_fma_f64 v[10:11], v[208:209], s[0:1], -v[12:13]
	v_fma_f64 v[12:13], v[210:211], s[16:17], -v[16:17]
	v_fma_f64 v[16:17], v[212:213], s[26:27], -v[22:23]
	v_add_f64 v[20:21], v[174:175], v[20:21]
	v_add_f64 v[16:17], v[16:17], v[20:21]
	;; [unrolled: 1-line block ×3, first 2 shown]
	v_fma_f64 v[8:9], v[206:207], s[8:9], -v[8:9]
	v_add_f64 v[10:11], v[10:11], v[12:13]
	v_fma_f64 v[2:3], v[204:205], s[20:21], -v[2:3]
	v_add_f64 v[8:9], v[8:9], v[10:11]
	v_fmac_f64_e32 v[34:35], s[12:13], v[226:227]
	v_add_f64 v[8:9], v[2:3], v[8:9]
	v_fmac_f64_e32 v[18:19], s[26:27], v[224:225]
	;; [unrolled: 2-line block ×4, first 2 shown]
	v_add_f64 v[2:3], v[30:31], v[2:3]
	v_mul_f64 v[28:29], v[244:245], s[14:15]
	v_add_f64 v[2:3], v[24:25], v[2:3]
	v_mul_f64 v[24:25], v[242:243], s[22:23]
	v_fma_f64 v[30:31], s[8:9], v[214:215], v[28:29]
	v_mul_f64 v[42:43], v[0:1], s[14:15]
	v_mul_f64 v[20:21], v[240:241], s[30:31]
	v_fma_f64 v[26:27], s[16:17], v[212:213], v[24:25]
	v_add_f64 v[30:31], v[174:175], v[30:31]
	v_mul_f64 v[38:39], v[254:255], s[22:23]
	v_fma_f64 v[44:45], v[226:227], s[8:9], -v[42:43]
	v_fmac_f64_e32 v[14:15], s[8:9], v[218:219]
	v_mul_f64 v[16:17], v[238:239], s[36:37]
	v_fma_f64 v[22:23], s[26:27], v[210:211], v[20:21]
	v_add_f64 v[26:27], v[26:27], v[30:31]
	v_mul_f64 v[34:35], v[252:253], s[30:31]
	v_fma_f64 v[40:41], v[224:225], s[16:17], -v[38:39]
	v_add_f64 v[44:45], v[172:173], v[44:45]
	v_fmac_f64_e32 v[6:7], s[20:21], v[216:217]
	v_add_f64 v[2:3], v[14:15], v[2:3]
	v_mul_f64 v[14:15], v[230:231], s[34:35]
	v_fma_f64 v[18:19], s[20:21], v[208:209], v[16:17]
	v_add_f64 v[22:23], v[22:23], v[26:27]
	v_mul_f64 v[30:31], v[250:251], s[36:37]
	v_fma_f64 v[36:37], v[222:223], s[26:27], -v[34:35]
	v_add_f64 v[40:41], v[40:41], v[44:45]
	v_add_f64 v[6:7], v[6:7], v[2:3]
	v_mul_f64 v[2:3], v[228:229], s[24:25]
	v_fma_f64 v[12:13], s[12:13], v[206:207], v[14:15]
	v_add_f64 v[18:19], v[18:19], v[22:23]
	v_mul_f64 v[22:23], v[248:249], s[34:35]
	v_fma_f64 v[32:33], v[220:221], s[20:21], -v[30:31]
	v_add_f64 v[36:37], v[36:37], v[40:41]
	v_fma_f64 v[10:11], s[0:1], v[204:205], v[2:3]
	v_add_f64 v[12:13], v[12:13], v[18:19]
	v_mul_f64 v[18:19], v[246:247], s[24:25]
	v_fma_f64 v[26:27], v[218:219], s[12:13], -v[22:23]
	v_add_f64 v[32:33], v[32:33], v[36:37]
	v_add_f64 v[12:13], v[10:11], v[12:13]
	v_fma_f64 v[10:11], v[216:217], s[0:1], -v[18:19]
	v_add_f64 v[26:27], v[26:27], v[32:33]
	v_add_f64 v[10:11], v[10:11], v[26:27]
	v_fma_f64 v[26:27], v[214:215], s[8:9], -v[28:29]
	v_fma_f64 v[24:25], v[212:213], s[16:17], -v[24:25]
	v_add_f64 v[26:27], v[174:175], v[26:27]
	v_fma_f64 v[20:21], v[210:211], s[26:27], -v[20:21]
	v_add_f64 v[24:25], v[24:25], v[26:27]
	;; [unrolled: 2-line block ×5, first 2 shown]
	v_fmac_f64_e32 v[42:43], s[8:9], v[226:227]
	v_add_f64 v[16:17], v[2:3], v[14:15]
	v_fmac_f64_e32 v[38:39], s[16:17], v[224:225]
	v_add_f64 v[2:3], v[172:173], v[42:43]
	;; [unrolled: 2-line block ×3, first 2 shown]
	v_mul_f64 v[36:37], v[244:245], s[10:11]
	v_fmac_f64_e32 v[30:31], s[20:21], v[220:221]
	v_add_f64 v[2:3], v[34:35], v[2:3]
	v_mul_f64 v[32:33], v[242:243], s[14:15]
	v_fma_f64 v[38:39], s[0:1], v[214:215], v[36:37]
	v_fmac_f64_e32 v[22:23], s[12:13], v[218:219]
	v_add_f64 v[2:3], v[30:31], v[2:3]
	v_mul_f64 v[20:21], v[230:231], s[28:29]
	v_mul_f64 v[28:29], v[240:241], s[18:19]
	v_fma_f64 v[34:35], s[8:9], v[212:213], v[32:33]
	v_add_f64 v[38:39], v[174:175], v[38:39]
	v_mul_f64 v[230:231], v[0:1], s[10:11]
	v_fmac_f64_e32 v[18:19], s[0:1], v[216:217]
	v_add_f64 v[2:3], v[22:23], v[2:3]
	v_mul_f64 v[24:25], v[238:239], s[22:23]
	v_fma_f64 v[30:31], s[12:13], v[210:211], v[28:29]
	v_add_f64 v[34:35], v[34:35], v[38:39]
	v_mul_f64 v[46:47], v[254:255], s[14:15]
	v_fma_f64 v[0:1], v[226:227], s[0:1], -v[230:231]
	v_add_f64 v[14:15], v[18:19], v[2:3]
	v_mul_f64 v[18:19], v[228:229], s[30:31]
	v_fma_f64 v[26:27], s[16:17], v[208:209], v[24:25]
	v_add_f64 v[30:31], v[30:31], v[34:35]
	v_mul_f64 v[42:43], v[252:253], s[18:19]
	v_fma_f64 v[228:229], v[224:225], s[8:9], -v[46:47]
	v_add_f64 v[0:1], v[172:173], v[0:1]
	v_fma_f64 v[22:23], s[20:21], v[206:207], v[20:21]
	v_add_f64 v[26:27], v[26:27], v[30:31]
	v_mul_f64 v[38:39], v[250:251], s[22:23]
	v_fma_f64 v[44:45], v[222:223], s[12:13], -v[42:43]
	v_add_f64 v[0:1], v[228:229], v[0:1]
	;; [unrolled: 5-line block ×3, first 2 shown]
	v_add_f64 v[2:3], v[2:3], v[22:23]
	v_mul_f64 v[22:23], v[246:247], s[30:31]
	v_fma_f64 v[34:35], v[218:219], s[20:21], -v[30:31]
	v_add_f64 v[0:1], v[40:41], v[0:1]
	v_fma_f64 v[26:27], v[216:217], s[26:27], -v[22:23]
	v_add_f64 v[0:1], v[34:35], v[0:1]
	v_add_f64 v[0:1], v[26:27], v[0:1]
	v_fma_f64 v[26:27], v[210:211], s[12:13], -v[28:29]
	v_fma_f64 v[28:29], v[212:213], s[8:9], -v[32:33]
	;; [unrolled: 1-line block ×3, first 2 shown]
	v_add_f64 v[32:33], v[174:175], v[32:33]
	v_add_f64 v[28:29], v[28:29], v[32:33]
	v_fma_f64 v[24:25], v[208:209], s[16:17], -v[24:25]
	v_add_f64 v[26:27], v[26:27], v[28:29]
	v_fma_f64 v[20:21], v[206:207], s[20:21], -v[20:21]
	;; [unrolled: 2-line block ×3, first 2 shown]
	v_add_f64 v[20:21], v[20:21], v[24:25]
	v_fmac_f64_e32 v[230:231], s[0:1], v[226:227]
	v_add_f64 v[206:207], v[18:19], v[20:21]
	v_fmac_f64_e32 v[46:47], s[8:9], v[224:225]
	;; [unrolled: 2-line block ×6, first 2 shown]
	v_add_f64 v[18:19], v[30:31], v[18:19]
	v_add_f64 v[204:205], v[22:23], v[18:19]
	;; [unrolled: 1-line block ×25, first 2 shown]
	v_lshl_add_u32 v5, v48, 4, v5
	v_accvgpr_read_b32 v48, a50
	v_accvgpr_read_b32 v254, a54
	v_add_f64 v[52:53], v[18:19], v[56:57]
	v_accvgpr_read_b32 v49, a51
	v_accvgpr_read_b32 v50, a52
	;; [unrolled: 1-line block ×3, first 2 shown]
	ds_write_b128 v5, v[52:55]
	ds_write_b128 v5, v[204:207] offset:16
	ds_write_b128 v5, v[14:17] offset:32
	;; [unrolled: 1-line block ×12, first 2 shown]
.LBB0_13:
	s_or_b64 exec, exec, s[44:45]
	s_waitcnt lgkmcnt(0)
	; wave barrier
	s_waitcnt lgkmcnt(0)
	ds_read_b128 v[52:55], v237
	ds_read_b128 v[56:59], v237 offset:208
	ds_read_b128 v[0:3], v237 offset:1248
	ds_read_b128 v[6:9], v237 offset:1456
	ds_read_b128 v[10:13], v237 offset:2496
	ds_read_b128 v[14:17], v237 offset:2704
	ds_read_b128 v[64:67], v237 offset:624
	ds_read_b128 v[60:63], v237 offset:416
	ds_read_b128 v[68:71], v237 offset:832
	ds_read_b128 v[72:75], v237 offset:1040
	ds_read_b128 v[76:79], v237 offset:1872
	ds_read_b128 v[86:89], v237 offset:1664
	ds_read_b128 v[90:93], v237 offset:2080
	ds_read_b128 v[168:171], v237 offset:2288
	ds_read_b128 v[172:175], v237 offset:2912
	s_waitcnt lgkmcnt(12)
	v_mul_f64 v[22:23], v[106:107], v[2:3]
	v_fmac_f64_e32 v[22:23], v[104:105], v[0:1]
	v_mul_f64 v[0:1], v[106:107], v[0:1]
	v_fma_f64 v[24:25], v[104:105], v[2:3], -v[0:1]
	s_waitcnt lgkmcnt(4)
	v_mul_f64 v[0:1], v[102:103], v[76:77]
	v_fma_f64 v[28:29], v[100:101], v[78:79], -v[0:1]
	v_mul_f64 v[30:31], v[98:99], v[12:13]
	v_mul_f64 v[0:1], v[98:99], v[10:11]
	v_fmac_f64_e32 v[30:31], v[96:97], v[10:11]
	v_fma_f64 v[10:11], v[96:97], v[12:13], -v[0:1]
	v_mul_f64 v[0:1], v[110:111], v[68:69]
	v_fma_f64 v[34:35], v[108:109], v[70:71], -v[0:1]
	v_mul_f64 v[0:1], v[106:107], v[6:7]
	v_mul_f64 v[36:37], v[106:107], v[8:9]
	v_fma_f64 v[38:39], v[104:105], v[8:9], -v[0:1]
	s_waitcnt lgkmcnt(2)
	v_mul_f64 v[0:1], v[102:103], v[90:91]
	v_mul_f64 v[18:19], v[110:111], v[66:67]
	v_fmac_f64_e32 v[36:37], v[104:105], v[6:7]
	v_mul_f64 v[40:41], v[102:103], v[92:93]
	v_fma_f64 v[42:43], v[100:101], v[92:93], -v[0:1]
	v_mul_f64 v[92:93], v[122:123], v[88:89]
	s_waitcnt lgkmcnt(1)
	v_mul_f64 v[6:7], v[118:119], v[168:169]
	v_fmac_f64_e32 v[18:19], v[108:109], v[64:65]
	v_fmac_f64_e32 v[92:93], v[120:121], v[86:87]
	v_mul_f64 v[2:3], v[122:123], v[86:87]
	v_fma_f64 v[86:87], v[116:117], v[170:171], -v[6:7]
	s_waitcnt lgkmcnt(0)
	v_mul_f64 v[6:7], v[114:115], v[172:173]
	v_mul_f64 v[26:27], v[102:103], v[78:79]
	v_fma_f64 v[2:3], v[120:121], v[88:89], -v[2:3]
	v_fma_f64 v[88:89], v[112:113], v[174:175], -v[6:7]
	v_add_f64 v[6:7], v[52:53], v[18:19]
	v_fmac_f64_e32 v[26:27], v[100:101], v[76:77]
	v_add_f64 v[6:7], v[6:7], v[22:23]
	v_mul_f64 v[20:21], v[110:111], v[64:65]
	v_mul_f64 v[32:33], v[110:111], v[70:71]
	v_add_f64 v[6:7], v[6:7], v[26:27]
	v_mov_b32_e32 v80, s2
	v_mov_b32_e32 v81, s3
	v_mad_u64_u32 v[82:83], s[0:1], s6, v236, 0
	v_fma_f64 v[20:21], v[108:109], v[66:67], -v[20:21]
	v_fmac_f64_e32 v[32:33], v[108:109], v[68:69]
	v_add_f64 v[68:69], v[6:7], v[30:31]
	v_add_f64 v[6:7], v[22:23], v[26:27]
	s_mov_b32 s2, 0x134454ff
	v_fmac_f64_e32 v[40:41], v[100:101], v[90:91]
	v_mul_f64 v[44:45], v[98:99], v[16:17]
	v_mul_f64 v[0:1], v[98:99], v[14:15]
	v_mul_f64 v[90:91], v[126:127], v[74:75]
	v_fma_f64 v[64:65], -0.5, v[6:7], v[52:53]
	v_add_f64 v[6:7], v[20:21], -v[10:11]
	s_mov_b32 s3, 0xbfee6f0e
	s_mov_b32 s0, 0x4755a5e
	;; [unrolled: 1-line block ×4, first 2 shown]
	v_fmac_f64_e32 v[44:45], v[96:97], v[14:15]
	v_fma_f64 v[46:47], v[96:97], v[16:17], -v[0:1]
	v_fmac_f64_e32 v[90:91], v[124:125], v[72:73]
	v_mul_f64 v[0:1], v[126:127], v[72:73]
	v_fma_f64 v[72:73], s[2:3], v[6:7], v[64:65]
	v_add_f64 v[8:9], v[24:25], -v[28:29]
	s_mov_b32 s1, 0xbfe2cf23
	v_add_f64 v[12:13], v[18:19], -v[22:23]
	v_add_f64 v[14:15], v[30:31], -v[26:27]
	s_mov_b32 s8, 0x372fe950
	v_fmac_f64_e32 v[64:65], s[10:11], v[6:7]
	s_mov_b32 s13, 0x3fe2cf23
	s_mov_b32 s12, s0
	v_fmac_f64_e32 v[72:73], s[0:1], v[8:9]
	v_add_f64 v[12:13], v[12:13], v[14:15]
	s_mov_b32 s9, 0x3fd3c6ef
	v_fmac_f64_e32 v[64:65], s[12:13], v[8:9]
	v_fmac_f64_e32 v[72:73], s[8:9], v[12:13]
	;; [unrolled: 1-line block ×3, first 2 shown]
	v_add_f64 v[12:13], v[18:19], v[30:31]
	v_fmac_f64_e32 v[52:53], -0.5, v[12:13]
	v_fma_f64 v[76:77], s[10:11], v[8:9], v[52:53]
	v_fmac_f64_e32 v[52:53], s[2:3], v[8:9]
	v_fmac_f64_e32 v[76:77], s[0:1], v[6:7]
	v_fmac_f64_e32 v[52:53], s[12:13], v[6:7]
	v_add_f64 v[6:7], v[54:55], v[20:21]
	v_add_f64 v[6:7], v[6:7], v[24:25]
	;; [unrolled: 1-line block ×3, first 2 shown]
	v_add_f64 v[12:13], v[22:23], -v[18:19]
	v_add_f64 v[14:15], v[26:27], -v[30:31]
	v_add_f64 v[70:71], v[6:7], v[10:11]
	v_add_f64 v[6:7], v[24:25], v[28:29]
	;; [unrolled: 1-line block ×3, first 2 shown]
	v_fma_f64 v[66:67], -0.5, v[6:7], v[54:55]
	v_add_f64 v[6:7], v[18:19], -v[30:31]
	v_fma_f64 v[0:1], v[124:125], v[74:75], -v[0:1]
	v_fmac_f64_e32 v[76:77], s[8:9], v[12:13]
	v_fmac_f64_e32 v[52:53], s[8:9], v[12:13]
	v_fma_f64 v[74:75], s[10:11], v[6:7], v[66:67]
	v_add_f64 v[8:9], v[22:23], -v[26:27]
	v_add_f64 v[12:13], v[20:21], -v[24:25]
	;; [unrolled: 1-line block ×3, first 2 shown]
	v_fmac_f64_e32 v[66:67], s[2:3], v[6:7]
	v_fmac_f64_e32 v[74:75], s[12:13], v[8:9]
	v_add_f64 v[12:13], v[12:13], v[14:15]
	v_fmac_f64_e32 v[66:67], s[0:1], v[8:9]
	v_fmac_f64_e32 v[74:75], s[8:9], v[12:13]
	;; [unrolled: 1-line block ×3, first 2 shown]
	v_add_f64 v[12:13], v[20:21], v[10:11]
	v_fmac_f64_e32 v[54:55], -0.5, v[12:13]
	v_fma_f64 v[78:79], s[2:3], v[8:9], v[54:55]
	v_add_f64 v[12:13], v[24:25], -v[20:21]
	v_add_f64 v[10:11], v[28:29], -v[10:11]
	v_fmac_f64_e32 v[54:55], s[10:11], v[8:9]
	v_fmac_f64_e32 v[78:79], s[12:13], v[6:7]
	v_add_f64 v[10:11], v[12:13], v[10:11]
	v_fmac_f64_e32 v[54:55], s[0:1], v[6:7]
	v_add_f64 v[8:9], v[36:37], v[40:41]
	v_fmac_f64_e32 v[78:79], s[8:9], v[10:11]
	v_fmac_f64_e32 v[54:55], s[8:9], v[10:11]
	v_fma_f64 v[10:11], -0.5, v[8:9], v[56:57]
	v_add_f64 v[8:9], v[34:35], -v[46:47]
	v_fma_f64 v[14:15], s[2:3], v[8:9], v[10:11]
	v_add_f64 v[12:13], v[38:39], -v[42:43]
	v_add_f64 v[16:17], v[32:33], -v[36:37]
	v_add_f64 v[18:19], v[44:45], -v[40:41]
	v_fmac_f64_e32 v[10:11], s[10:11], v[8:9]
	v_fmac_f64_e32 v[14:15], s[0:1], v[12:13]
	v_add_f64 v[16:17], v[16:17], v[18:19]
	v_fmac_f64_e32 v[10:11], s[12:13], v[12:13]
	v_fmac_f64_e32 v[14:15], s[8:9], v[16:17]
	;; [unrolled: 1-line block ×3, first 2 shown]
	v_add_f64 v[16:17], v[32:33], v[44:45]
	v_add_f64 v[6:7], v[56:57], v[32:33]
	v_fmac_f64_e32 v[56:57], -0.5, v[16:17]
	v_fma_f64 v[98:99], s[10:11], v[12:13], v[56:57]
	v_add_f64 v[16:17], v[36:37], -v[32:33]
	v_add_f64 v[18:19], v[40:41], -v[44:45]
	v_fmac_f64_e32 v[56:57], s[2:3], v[12:13]
	v_add_f64 v[12:13], v[38:39], v[42:43]
	v_fmac_f64_e32 v[98:99], s[0:1], v[8:9]
	v_add_f64 v[16:17], v[16:17], v[18:19]
	v_fmac_f64_e32 v[56:57], s[12:13], v[8:9]
	v_fma_f64 v[12:13], -0.5, v[12:13], v[58:59]
	v_add_f64 v[18:19], v[32:33], -v[44:45]
	v_fmac_f64_e32 v[98:99], s[8:9], v[16:17]
	v_fmac_f64_e32 v[56:57], s[8:9], v[16:17]
	v_fma_f64 v[16:17], s[10:11], v[18:19], v[12:13]
	v_add_f64 v[20:21], v[36:37], -v[40:41]
	v_add_f64 v[22:23], v[34:35], -v[38:39]
	;; [unrolled: 1-line block ×3, first 2 shown]
	v_fmac_f64_e32 v[12:13], s[2:3], v[18:19]
	v_fmac_f64_e32 v[16:17], s[12:13], v[20:21]
	v_add_f64 v[22:23], v[22:23], v[24:25]
	v_fmac_f64_e32 v[12:13], s[0:1], v[20:21]
	v_fmac_f64_e32 v[16:17], s[8:9], v[22:23]
	;; [unrolled: 1-line block ×3, first 2 shown]
	v_add_f64 v[22:23], v[34:35], v[46:47]
	v_add_f64 v[8:9], v[58:59], v[34:35]
	v_fmac_f64_e32 v[58:59], -0.5, v[22:23]
	v_fma_f64 v[100:101], s[2:3], v[20:21], v[58:59]
	v_fmac_f64_e32 v[58:59], s[10:11], v[20:21]
	v_mul_f64 v[94:95], v[118:119], v[170:171]
	v_fmac_f64_e32 v[100:101], s[12:13], v[18:19]
	v_fmac_f64_e32 v[58:59], s[0:1], v[18:19]
	v_add_f64 v[18:19], v[60:61], v[90:91]
	v_fmac_f64_e32 v[94:95], v[116:117], v[168:169]
	v_mul_f64 v[96:97], v[114:115], v[174:175]
	v_add_f64 v[18:19], v[18:19], v[92:93]
	v_fmac_f64_e32 v[96:97], v[112:113], v[172:173]
	v_add_f64 v[18:19], v[18:19], v[94:95]
	v_add_f64 v[22:23], v[38:39], -v[34:35]
	v_add_f64 v[24:25], v[42:43], -v[46:47]
	v_add_f64 v[102:103], v[18:19], v[96:97]
	v_add_f64 v[18:19], v[92:93], v[94:95]
	;; [unrolled: 1-line block ×3, first 2 shown]
	v_fma_f64 v[106:107], -0.5, v[18:19], v[60:61]
	v_add_f64 v[18:19], v[0:1], -v[88:89]
	v_fmac_f64_e32 v[100:101], s[8:9], v[22:23]
	v_fmac_f64_e32 v[58:59], s[8:9], v[22:23]
	v_fma_f64 v[110:111], s[2:3], v[18:19], v[106:107]
	v_add_f64 v[20:21], v[2:3], -v[86:87]
	v_add_f64 v[22:23], v[90:91], -v[92:93]
	;; [unrolled: 1-line block ×3, first 2 shown]
	v_fmac_f64_e32 v[106:107], s[10:11], v[18:19]
	v_fmac_f64_e32 v[110:111], s[0:1], v[20:21]
	v_add_f64 v[22:23], v[22:23], v[24:25]
	v_fmac_f64_e32 v[106:107], s[12:13], v[20:21]
	v_fmac_f64_e32 v[110:111], s[8:9], v[22:23]
	;; [unrolled: 1-line block ×3, first 2 shown]
	v_add_f64 v[22:23], v[90:91], v[96:97]
	v_fmac_f64_e32 v[60:61], -0.5, v[22:23]
	v_fma_f64 v[114:115], s[10:11], v[20:21], v[60:61]
	v_fmac_f64_e32 v[60:61], s[2:3], v[20:21]
	v_fmac_f64_e32 v[114:115], s[0:1], v[18:19]
	;; [unrolled: 1-line block ×3, first 2 shown]
	v_add_f64 v[18:19], v[62:63], v[0:1]
	v_add_f64 v[18:19], v[18:19], v[2:3]
	;; [unrolled: 1-line block ×3, first 2 shown]
	v_add_f64 v[22:23], v[92:93], -v[90:91]
	v_add_f64 v[24:25], v[94:95], -v[96:97]
	v_add_f64 v[104:105], v[18:19], v[88:89]
	v_add_f64 v[18:19], v[2:3], v[86:87]
	;; [unrolled: 1-line block ×3, first 2 shown]
	v_fma_f64 v[108:109], -0.5, v[18:19], v[62:63]
	v_add_f64 v[18:19], v[90:91], -v[96:97]
	v_fmac_f64_e32 v[114:115], s[8:9], v[22:23]
	v_fmac_f64_e32 v[60:61], s[8:9], v[22:23]
	v_fma_f64 v[112:113], s[10:11], v[18:19], v[108:109]
	v_add_f64 v[20:21], v[92:93], -v[94:95]
	v_add_f64 v[22:23], v[0:1], -v[2:3]
	;; [unrolled: 1-line block ×3, first 2 shown]
	v_fmac_f64_e32 v[108:109], s[2:3], v[18:19]
	v_fmac_f64_e32 v[112:113], s[12:13], v[20:21]
	v_add_f64 v[22:23], v[22:23], v[24:25]
	v_fmac_f64_e32 v[108:109], s[0:1], v[20:21]
	v_fmac_f64_e32 v[112:113], s[8:9], v[22:23]
	;; [unrolled: 1-line block ×3, first 2 shown]
	v_add_f64 v[22:23], v[0:1], v[88:89]
	v_fmac_f64_e32 v[62:63], -0.5, v[22:23]
	v_add_f64 v[6:7], v[6:7], v[36:37]
	v_add_f64 v[8:9], v[8:9], v[38:39]
	v_fma_f64 v[116:117], s[2:3], v[20:21], v[62:63]
	v_add_f64 v[0:1], v[2:3], -v[0:1]
	v_add_f64 v[2:3], v[86:87], -v[88:89]
	v_fmac_f64_e32 v[62:63], s[10:11], v[20:21]
	v_add_f64 v[6:7], v[6:7], v[40:41]
	v_add_f64 v[8:9], v[8:9], v[42:43]
	;; [unrolled: 1-line block ×3, first 2 shown]
	v_fmac_f64_e32 v[62:63], s[0:1], v[18:19]
	v_add_f64 v[6:7], v[6:7], v[44:45]
	v_add_f64 v[8:9], v[8:9], v[46:47]
	v_fmac_f64_e32 v[116:117], s[12:13], v[18:19]
	v_fmac_f64_e32 v[62:63], s[8:9], v[0:1]
	;; [unrolled: 1-line block ×3, first 2 shown]
	s_waitcnt lgkmcnt(0)
	; wave barrier
	ds_write_b128 v237, v[68:71]
	ds_write_b128 v237, v[72:75] offset:208
	ds_write_b128 v237, v[76:79] offset:416
	;; [unrolled: 1-line block ×14, first 2 shown]
	s_waitcnt lgkmcnt(0)
	; wave barrier
	s_waitcnt lgkmcnt(0)
	ds_read_b128 v[52:55], v237
	ds_read_b128 v[56:59], v237 offset:208
	ds_read_b128 v[0:3], v237 offset:2080
	;; [unrolled: 1-line block ×14, first 2 shown]
	s_waitcnt lgkmcnt(12)
	v_mul_f64 v[20:21], v[130:131], v[2:3]
	v_fmac_f64_e32 v[20:21], v[128:129], v[0:1]
	v_mul_f64 v[0:1], v[130:131], v[0:1]
	v_fma_f64 v[22:23], v[128:129], v[2:3], -v[0:1]
	s_waitcnt lgkmcnt(10)
	v_mul_f64 v[0:1], v[142:143], v[8:9]
	v_fma_f64 v[26:27], v[140:141], v[10:11], -v[0:1]
	v_mul_f64 v[0:1], v[138:139], v[4:5]
	v_fma_f64 v[30:31], v[136:137], v[6:7], -v[0:1]
	s_waitcnt lgkmcnt(9)
	v_mul_f64 v[0:1], v[150:151], v[12:13]
	v_fma_f64 v[34:35], v[148:149], v[14:15], -v[0:1]
	s_waitcnt lgkmcnt(6)
	;; [unrolled: 3-line block ×3, first 2 shown]
	v_mul_f64 v[0:1], v[158:159], v[90:91]
	v_mul_f64 v[16:17], v[134:135], v[88:89]
	v_fma_f64 v[42:43], v[156:157], v[92:93], -v[0:1]
	v_mul_f64 v[0:1], v[154:155], v[76:77]
	v_fmac_f64_e32 v[16:17], v[132:133], v[86:87]
	v_mul_f64 v[18:19], v[134:135], v[86:87]
	v_fma_f64 v[46:47], v[152:153], v[78:79], -v[0:1]
	s_waitcnt lgkmcnt(1)
	v_mul_f64 v[0:1], v[166:167], v[94:95]
	v_fma_f64 v[18:19], v[132:133], v[88:89], -v[18:19]
	v_mul_f64 v[24:25], v[142:143], v[10:11]
	v_mul_f64 v[28:29], v[138:139], v[6:7]
	v_fma_f64 v[104:105], v[164:165], v[96:97], -v[0:1]
	s_waitcnt lgkmcnt(0)
	v_mul_f64 v[0:1], v[162:163], v[98:99]
	v_add_f64 v[2:3], v[16:17], v[20:21]
	s_mov_b32 s0, 0xe8584caa
	v_fmac_f64_e32 v[24:25], v[140:141], v[8:9]
	v_fmac_f64_e32 v[28:29], v[136:137], v[4:5]
	v_mul_f64 v[106:107], v[162:163], v[100:101]
	v_fma_f64 v[100:101], v[160:161], v[100:101], -v[0:1]
	v_add_f64 v[0:1], v[52:53], v[16:17]
	v_fmac_f64_e32 v[52:53], -0.5, v[2:3]
	v_add_f64 v[2:3], v[18:19], -v[22:23]
	s_mov_b32 s1, 0xbfebb67a
	s_mov_b32 s3, 0x3febb67a
	;; [unrolled: 1-line block ×3, first 2 shown]
	v_add_f64 v[6:7], v[18:19], v[22:23]
	v_fma_f64 v[4:5], s[0:1], v[2:3], v[52:53]
	v_fmac_f64_e32 v[52:53], s[2:3], v[2:3]
	v_add_f64 v[2:3], v[54:55], v[18:19]
	v_fmac_f64_e32 v[54:55], -0.5, v[6:7]
	v_add_f64 v[8:9], v[16:17], -v[20:21]
	v_add_f64 v[10:11], v[24:25], v[28:29]
	v_mul_f64 v[32:33], v[150:151], v[14:15]
	v_fma_f64 v[6:7], s[2:3], v[8:9], v[54:55]
	v_fmac_f64_e32 v[54:55], s[0:1], v[8:9]
	v_add_f64 v[8:9], v[56:57], v[24:25]
	v_fmac_f64_e32 v[56:57], -0.5, v[10:11]
	v_add_f64 v[10:11], v[26:27], -v[30:31]
	v_add_f64 v[14:15], v[26:27], v[30:31]
	v_fmac_f64_e32 v[32:33], v[148:149], v[12:13]
	v_mul_f64 v[36:37], v[146:147], v[74:75]
	v_fma_f64 v[12:13], s[0:1], v[10:11], v[56:57]
	v_fmac_f64_e32 v[56:57], s[2:3], v[10:11]
	v_add_f64 v[10:11], v[58:59], v[26:27]
	v_fmac_f64_e32 v[58:59], -0.5, v[14:15]
	v_add_f64 v[16:17], v[24:25], -v[28:29]
	v_fmac_f64_e32 v[36:37], v[144:145], v[72:73]
	v_fma_f64 v[14:15], s[2:3], v[16:17], v[58:59]
	v_fmac_f64_e32 v[58:59], s[0:1], v[16:17]
	v_add_f64 v[16:17], v[60:61], v[32:33]
	v_add_f64 v[72:73], v[16:17], v[36:37]
	v_add_f64 v[16:17], v[32:33], v[36:37]
	v_mul_f64 v[44:45], v[154:155], v[78:79]
	v_fmac_f64_e32 v[60:61], -0.5, v[16:17]
	v_add_f64 v[16:17], v[34:35], -v[38:39]
	v_fmac_f64_e32 v[44:45], v[152:153], v[76:77]
	v_fma_f64 v[76:77], s[0:1], v[16:17], v[60:61]
	v_fmac_f64_e32 v[60:61], s[2:3], v[16:17]
	v_add_f64 v[16:17], v[62:63], v[34:35]
	v_mul_f64 v[40:41], v[158:159], v[92:93]
	v_add_f64 v[74:75], v[16:17], v[38:39]
	v_add_f64 v[16:17], v[34:35], v[38:39]
	v_fmac_f64_e32 v[40:41], v[156:157], v[90:91]
	v_fmac_f64_e32 v[62:63], -0.5, v[16:17]
	v_add_f64 v[16:17], v[32:33], -v[36:37]
	v_fma_f64 v[78:79], s[2:3], v[16:17], v[62:63]
	v_fmac_f64_e32 v[62:63], s[0:1], v[16:17]
	v_add_f64 v[16:17], v[64:65], v[40:41]
	v_add_f64 v[86:87], v[16:17], v[44:45]
	;; [unrolled: 1-line block ×3, first 2 shown]
	v_fmac_f64_e32 v[64:65], -0.5, v[16:17]
	v_add_f64 v[16:17], v[42:43], -v[46:47]
	v_fma_f64 v[90:91], s[0:1], v[16:17], v[64:65]
	v_fmac_f64_e32 v[64:65], s[2:3], v[16:17]
	v_add_f64 v[16:17], v[66:67], v[42:43]
	v_mul_f64 v[102:103], v[166:167], v[96:97]
	v_add_f64 v[88:89], v[16:17], v[46:47]
	v_add_f64 v[16:17], v[42:43], v[46:47]
	v_fmac_f64_e32 v[102:103], v[164:165], v[94:95]
	v_fmac_f64_e32 v[66:67], -0.5, v[16:17]
	v_add_f64 v[16:17], v[40:41], -v[44:45]
	v_fmac_f64_e32 v[106:107], v[160:161], v[98:99]
	v_fma_f64 v[92:93], s[2:3], v[16:17], v[66:67]
	v_fmac_f64_e32 v[66:67], s[0:1], v[16:17]
	v_add_f64 v[16:17], v[68:69], v[102:103]
	v_add_f64 v[94:95], v[16:17], v[106:107]
	v_add_f64 v[16:17], v[102:103], v[106:107]
	v_fmac_f64_e32 v[68:69], -0.5, v[16:17]
	v_add_f64 v[16:17], v[104:105], -v[100:101]
	v_fma_f64 v[98:99], s[0:1], v[16:17], v[68:69]
	v_fmac_f64_e32 v[68:69], s[2:3], v[16:17]
	v_add_f64 v[16:17], v[70:71], v[104:105]
	v_add_f64 v[96:97], v[16:17], v[100:101]
	;; [unrolled: 1-line block ×5, first 2 shown]
	v_fmac_f64_e32 v[70:71], -0.5, v[16:17]
	v_add_f64 v[16:17], v[102:103], -v[106:107]
	v_add_f64 v[8:9], v[8:9], v[28:29]
	v_add_f64 v[10:11], v[10:11], v[30:31]
	v_fma_f64 v[100:101], s[2:3], v[16:17], v[70:71]
	v_fmac_f64_e32 v[70:71], s[0:1], v[16:17]
	ds_write_b128 v237, v[0:3]
	ds_write_b128 v233, v[4:7] offset:1040
	ds_write_b128 v233, v[52:55] offset:2080
	;; [unrolled: 1-line block ×14, first 2 shown]
	s_waitcnt lgkmcnt(0)
	; wave barrier
	s_waitcnt lgkmcnt(0)
	ds_read_b128 v[0:3], v237
	v_mov_b32_e32 v84, v83
	v_mad_u64_u32 v[4:5], s[0:1], s7, v236, v[84:85]
	v_mov_b32_e32 v83, v4
	ds_read_b128 v[4:7], v237 offset:240
	s_waitcnt lgkmcnt(1)
	v_mul_f64 v[8:9], v[50:51], v[2:3]
	v_fmac_f64_e32 v[8:9], v[48:49], v[0:1]
	s_mov_b32 s0, 0x15015015
	v_mul_f64 v[0:1], v[50:51], v[0:1]
	s_mov_b32 s1, 0x3f750150
	v_fma_f64 v[0:1], v[48:49], v[2:3], -v[0:1]
	v_mul_f64 v[10:11], v[0:1], s[0:1]
	v_mad_u64_u32 v[0:1], s[2:3], s4, v232, 0
	v_mov_b32_e32 v2, v1
	v_mad_u64_u32 v[2:3], s[2:3], s5, v232, v[2:3]
	v_mov_b32_e32 v1, v2
	v_lshl_add_u64 v[48:49], v[82:83], 4, v[80:81]
	v_mul_f64 v[8:9], v[8:9], s[0:1]
	v_lshl_add_u64 v[12:13], v[0:1], 4, v[48:49]
	global_store_dwordx4 v[12:13], v[8:11], off
	v_mov_b32_e32 v14, 0xf0
	v_mad_u64_u32 v[12:13], s[2:3], s4, v14, v[12:13]
	v_accvgpr_read_b32 v8, a42
	v_accvgpr_read_b32 v10, a44
	;; [unrolled: 1-line block ×4, first 2 shown]
	s_waitcnt lgkmcnt(0)
	v_mul_f64 v[0:1], v[10:11], v[6:7]
	v_mul_f64 v[2:3], v[10:11], v[4:5]
	v_fmac_f64_e32 v[0:1], v[8:9], v[4:5]
	v_fma_f64 v[2:3], v[8:9], v[6:7], -v[2:3]
	ds_read_b128 v[4:7], v237 offset:480
	s_mul_i32 s2, s5, 0xf0
	v_accvgpr_read_b32 v19, a17
	v_mul_f64 v[0:1], v[0:1], s[0:1]
	v_mul_f64 v[2:3], v[2:3], s[0:1]
	v_add_u32_e32 v13, s2, v13
	v_accvgpr_read_b32 v18, a16
	global_store_dwordx4 v[12:13], v[0:3], off
	ds_read_b128 v[0:3], v237 offset:720
	v_accvgpr_read_b32 v17, a15
	v_accvgpr_read_b32 v16, a14
	s_waitcnt lgkmcnt(1)
	v_mul_f64 v[8:9], v[18:19], v[6:7]
	v_fmac_f64_e32 v[8:9], v[16:17], v[4:5]
	v_mul_f64 v[4:5], v[18:19], v[4:5]
	v_fma_f64 v[4:5], v[16:17], v[6:7], -v[4:5]
	v_mad_u64_u32 v[12:13], s[6:7], s4, v14, v[12:13]
	v_mul_f64 v[8:9], v[8:9], s[0:1]
	v_mul_f64 v[10:11], v[4:5], s[0:1]
	v_add_u32_e32 v13, s2, v13
	global_store_dwordx4 v[12:13], v[8:11], off
	v_accvgpr_read_b32 v6, a46
	v_accvgpr_read_b32 v7, a47
	;; [unrolled: 1-line block ×4, first 2 shown]
	s_waitcnt lgkmcnt(0)
	v_mul_f64 v[4:5], v[8:9], v[2:3]
	v_fmac_f64_e32 v[4:5], v[6:7], v[0:1]
	v_mul_f64 v[0:1], v[8:9], v[0:1]
	v_fma_f64 v[0:1], v[6:7], v[2:3], -v[0:1]
	v_mul_f64 v[6:7], v[0:1], s[0:1]
	ds_read_b128 v[0:3], v237 offset:960
	v_mad_u64_u32 v[12:13], s[6:7], s4, v14, v[12:13]
	v_accvgpr_read_b32 v16, a18
	v_mul_f64 v[4:5], v[4:5], s[0:1]
	v_add_u32_e32 v13, s2, v13
	v_accvgpr_read_b32 v18, a20
	v_accvgpr_read_b32 v19, a21
	global_store_dwordx4 v[12:13], v[4:7], off
	ds_read_b128 v[4:7], v237 offset:1200
	v_accvgpr_read_b32 v17, a19
	s_waitcnt lgkmcnt(1)
	v_mul_f64 v[8:9], v[18:19], v[2:3]
	v_fmac_f64_e32 v[8:9], v[16:17], v[0:1]
	v_mul_f64 v[0:1], v[18:19], v[0:1]
	v_fma_f64 v[0:1], v[16:17], v[2:3], -v[0:1]
	v_mad_u64_u32 v[12:13], s[6:7], s4, v14, v[12:13]
	v_mul_f64 v[8:9], v[8:9], s[0:1]
	v_mul_f64 v[10:11], v[0:1], s[0:1]
	v_add_u32_e32 v13, s2, v13
	global_store_dwordx4 v[12:13], v[8:11], off
	v_mad_u64_u32 v[12:13], s[6:7], s4, v14, v[12:13]
	s_nop 0
	v_accvgpr_read_b32 v8, a38
	v_accvgpr_read_b32 v10, a40
	;; [unrolled: 1-line block ×4, first 2 shown]
	s_waitcnt lgkmcnt(0)
	v_mul_f64 v[0:1], v[10:11], v[6:7]
	v_mul_f64 v[2:3], v[10:11], v[4:5]
	v_fmac_f64_e32 v[0:1], v[8:9], v[4:5]
	v_fma_f64 v[2:3], v[8:9], v[6:7], -v[2:3]
	ds_read_b128 v[4:7], v237 offset:1440
	v_accvgpr_read_b32 v19, a13
	v_mul_f64 v[0:1], v[0:1], s[0:1]
	v_mul_f64 v[2:3], v[2:3], s[0:1]
	v_add_u32_e32 v13, s2, v13
	v_accvgpr_read_b32 v18, a12
	global_store_dwordx4 v[12:13], v[0:3], off
	ds_read_b128 v[0:3], v237 offset:1680
	v_accvgpr_read_b32 v17, a11
	v_accvgpr_read_b32 v16, a10
	s_waitcnt lgkmcnt(1)
	v_mul_f64 v[8:9], v[18:19], v[6:7]
	v_fmac_f64_e32 v[8:9], v[16:17], v[4:5]
	v_mul_f64 v[4:5], v[18:19], v[4:5]
	v_fma_f64 v[4:5], v[16:17], v[6:7], -v[4:5]
	v_mad_u64_u32 v[12:13], s[6:7], s4, v14, v[12:13]
	v_mul_f64 v[8:9], v[8:9], s[0:1]
	v_mul_f64 v[10:11], v[4:5], s[0:1]
	v_add_u32_e32 v13, s2, v13
	global_store_dwordx4 v[12:13], v[8:11], off
	v_accvgpr_read_b32 v6, a34
	v_accvgpr_read_b32 v7, a35
	;; [unrolled: 1-line block ×4, first 2 shown]
	s_waitcnt lgkmcnt(0)
	v_mul_f64 v[4:5], v[8:9], v[2:3]
	v_fmac_f64_e32 v[4:5], v[6:7], v[0:1]
	v_mul_f64 v[0:1], v[8:9], v[0:1]
	v_fma_f64 v[0:1], v[6:7], v[2:3], -v[0:1]
	v_mul_f64 v[6:7], v[0:1], s[0:1]
	ds_read_b128 v[0:3], v237 offset:1920
	v_mad_u64_u32 v[12:13], s[6:7], s4, v14, v[12:13]
	v_accvgpr_read_b32 v19, a9
	v_mul_f64 v[4:5], v[4:5], s[0:1]
	v_add_u32_e32 v13, s2, v13
	v_accvgpr_read_b32 v18, a8
	global_store_dwordx4 v[12:13], v[4:7], off
	ds_read_b128 v[4:7], v237 offset:2160
	v_accvgpr_read_b32 v17, a7
	v_accvgpr_read_b32 v16, a6
	s_waitcnt lgkmcnt(1)
	v_mul_f64 v[8:9], v[18:19], v[2:3]
	v_fmac_f64_e32 v[8:9], v[16:17], v[0:1]
	v_mul_f64 v[0:1], v[18:19], v[0:1]
	v_fma_f64 v[0:1], v[16:17], v[2:3], -v[0:1]
	v_mad_u64_u32 v[12:13], s[6:7], s4, v14, v[12:13]
	v_mul_f64 v[8:9], v[8:9], s[0:1]
	v_mul_f64 v[10:11], v[0:1], s[0:1]
	v_add_u32_e32 v13, s2, v13
	global_store_dwordx4 v[12:13], v[8:11], off
	v_mad_u64_u32 v[12:13], s[6:7], s4, v14, v[12:13]
	s_nop 0
	v_accvgpr_read_b32 v8, a26
	v_accvgpr_read_b32 v10, a28
	;; [unrolled: 1-line block ×4, first 2 shown]
	s_waitcnt lgkmcnt(0)
	v_mul_f64 v[0:1], v[10:11], v[6:7]
	v_mul_f64 v[2:3], v[10:11], v[4:5]
	v_fmac_f64_e32 v[0:1], v[8:9], v[4:5]
	v_fma_f64 v[2:3], v[8:9], v[6:7], -v[2:3]
	ds_read_b128 v[4:7], v237 offset:2400
	v_accvgpr_read_b32 v19, a5
	v_mul_f64 v[0:1], v[0:1], s[0:1]
	v_mul_f64 v[2:3], v[2:3], s[0:1]
	v_add_u32_e32 v13, s2, v13
	v_accvgpr_read_b32 v18, a4
	global_store_dwordx4 v[12:13], v[0:3], off
	ds_read_b128 v[0:3], v237 offset:2640
	v_accvgpr_read_b32 v17, a3
	v_accvgpr_read_b32 v16, a2
	s_waitcnt lgkmcnt(1)
	v_mul_f64 v[8:9], v[18:19], v[6:7]
	v_fmac_f64_e32 v[8:9], v[16:17], v[4:5]
	v_mul_f64 v[4:5], v[18:19], v[4:5]
	v_fma_f64 v[4:5], v[16:17], v[6:7], -v[4:5]
	v_mad_u64_u32 v[12:13], s[6:7], s4, v14, v[12:13]
	v_mul_f64 v[8:9], v[8:9], s[0:1]
	v_mul_f64 v[10:11], v[4:5], s[0:1]
	v_add_u32_e32 v13, s2, v13
	global_store_dwordx4 v[12:13], v[8:11], off
	v_accvgpr_read_b32 v6, a22
	v_accvgpr_read_b32 v7, a23
	;; [unrolled: 1-line block ×4, first 2 shown]
	s_waitcnt lgkmcnt(0)
	v_mul_f64 v[4:5], v[8:9], v[2:3]
	v_fmac_f64_e32 v[4:5], v[6:7], v[0:1]
	v_mul_f64 v[0:1], v[8:9], v[0:1]
	v_fma_f64 v[0:1], v[6:7], v[2:3], -v[0:1]
	v_mul_f64 v[6:7], v[0:1], s[0:1]
	ds_read_b128 v[0:3], v237 offset:2880
	v_mad_u64_u32 v[8:9], s[6:7], s4, v14, v[12:13]
	v_accvgpr_read_b32 v10, a30
	v_mul_f64 v[4:5], v[4:5], s[0:1]
	v_add_u32_e32 v9, s2, v9
	v_accvgpr_read_b32 v12, a32
	v_accvgpr_read_b32 v13, a33
	global_store_dwordx4 v[8:9], v[4:7], off
	v_accvgpr_read_b32 v11, a31
	s_waitcnt lgkmcnt(0)
	v_mul_f64 v[4:5], v[12:13], v[2:3]
	v_fmac_f64_e32 v[4:5], v[10:11], v[0:1]
	v_mul_f64 v[0:1], v[12:13], v[0:1]
	v_fma_f64 v[0:1], v[10:11], v[2:3], -v[0:1]
	v_mul_f64 v[6:7], v[0:1], s[0:1]
	v_mad_u64_u32 v[0:1], s[6:7], s4, v14, v[8:9]
	v_mul_f64 v[4:5], v[4:5], s[0:1]
	v_add_u32_e32 v1, s2, v1
	global_store_dwordx4 v[0:1], v[4:7], off
	s_and_b64 exec, exec, vcc
	s_cbranch_execz .LBB0_15
; %bb.14:
	global_load_dwordx4 v[2:5], v[234:235], off offset:208
	ds_read_b128 v[6:9], v233 offset:208
	v_mov_b32_e32 v10, 0xfffff590
	s_mul_i32 s6, s5, 0xfffff590
	v_mad_u64_u32 v[12:13], s[2:3], s4, v10, v[0:1]
	s_sub_i32 s2, s6, s4
	s_nop 0
	v_add_u32_e32 v13, s2, v13
	v_accvgpr_read_b32 v17, a1
	v_mad_u64_u32 v[14:15], s[2:3], s4, v17, 0
	v_mov_b32_e32 v16, v15
	v_mad_u64_u32 v[16:17], s[2:3], s5, v17, v[16:17]
	v_mov_b32_e32 v15, v16
	v_lshl_add_u64 v[14:15], v[14:15], 4, v[48:49]
	v_mov_b32_e32 v18, 0x1e0
	s_mul_i32 s2, s5, 0x1e0
	s_waitcnt vmcnt(0) lgkmcnt(0)
	v_mul_f64 v[0:1], v[8:9], v[4:5]
	v_mul_f64 v[4:5], v[6:7], v[4:5]
	v_fmac_f64_e32 v[0:1], v[6:7], v[2:3]
	v_fma_f64 v[2:3], v[2:3], v[8:9], -v[4:5]
	v_mul_f64 v[0:1], v[0:1], s[0:1]
	v_mul_f64 v[2:3], v[2:3], s[0:1]
	global_store_dwordx4 v[12:13], v[0:3], off
	global_load_dwordx4 v[0:3], v[234:235], off offset:448
	ds_read_b128 v[4:7], v237 offset:448
	ds_read_b128 v[8:11], v237 offset:688
	v_mad_u64_u32 v[12:13], s[6:7], s4, v18, v[12:13]
	v_add_u32_e32 v13, s2, v13
	s_waitcnt vmcnt(0) lgkmcnt(1)
	v_mul_f64 v[16:17], v[6:7], v[2:3]
	v_mul_f64 v[2:3], v[4:5], v[2:3]
	v_fmac_f64_e32 v[16:17], v[4:5], v[0:1]
	v_fma_f64 v[2:3], v[0:1], v[6:7], -v[2:3]
	v_mul_f64 v[0:1], v[16:17], s[0:1]
	v_mul_f64 v[2:3], v[2:3], s[0:1]
	global_store_dwordx4 v[14:15], v[0:3], off
	global_load_dwordx4 v[0:3], v[234:235], off offset:688
	v_accvgpr_read_b32 v17, a0
	v_mad_u64_u32 v[14:15], s[6:7], s4, v17, 0
	v_mov_b32_e32 v16, v15
	v_mad_u64_u32 v[16:17], s[6:7], s5, v17, v[16:17]
	v_mov_b32_e32 v15, v16
	v_lshl_add_u64 v[14:15], v[14:15], 4, v[48:49]
	s_waitcnt vmcnt(0) lgkmcnt(0)
	v_mul_f64 v[4:5], v[10:11], v[2:3]
	v_mul_f64 v[2:3], v[8:9], v[2:3]
	v_fmac_f64_e32 v[4:5], v[8:9], v[0:1]
	v_fma_f64 v[2:3], v[0:1], v[10:11], -v[2:3]
	v_mul_f64 v[0:1], v[4:5], s[0:1]
	v_mul_f64 v[2:3], v[2:3], s[0:1]
	global_store_dwordx4 v[12:13], v[0:3], off
	global_load_dwordx4 v[0:3], v[234:235], off offset:928
	ds_read_b128 v[4:7], v237 offset:928
	ds_read_b128 v[8:11], v237 offset:1168
	v_mad_u64_u32 v[12:13], s[6:7], s4, v18, v[12:13]
	v_add_u32_e32 v13, s2, v13
	s_waitcnt vmcnt(0) lgkmcnt(1)
	v_mul_f64 v[16:17], v[6:7], v[2:3]
	v_mul_f64 v[2:3], v[4:5], v[2:3]
	v_fmac_f64_e32 v[16:17], v[4:5], v[0:1]
	v_fma_f64 v[2:3], v[0:1], v[6:7], -v[2:3]
	v_mul_f64 v[0:1], v[16:17], s[0:1]
	v_mul_f64 v[2:3], v[2:3], s[0:1]
	global_store_dwordx4 v[14:15], v[0:3], off
	global_load_dwordx4 v[0:3], v[234:235], off offset:1168
	v_or_b32_e32 v17, 0x58, v232
	v_mad_u64_u32 v[14:15], s[6:7], s4, v17, 0
	v_mov_b32_e32 v16, v15
	v_mad_u64_u32 v[16:17], s[6:7], s5, v17, v[16:17]
	v_mov_b32_e32 v15, v16
	v_lshl_add_u64 v[14:15], v[14:15], 4, v[48:49]
	s_waitcnt vmcnt(0) lgkmcnt(0)
	v_mul_f64 v[4:5], v[10:11], v[2:3]
	v_mul_f64 v[2:3], v[8:9], v[2:3]
	v_fmac_f64_e32 v[4:5], v[8:9], v[0:1]
	v_fma_f64 v[2:3], v[0:1], v[10:11], -v[2:3]
	v_mul_f64 v[0:1], v[4:5], s[0:1]
	v_mul_f64 v[2:3], v[2:3], s[0:1]
	global_store_dwordx4 v[12:13], v[0:3], off
	global_load_dwordx4 v[0:3], v[234:235], off offset:1408
	ds_read_b128 v[4:7], v237 offset:1408
	ds_read_b128 v[8:11], v237 offset:1648
	v_mad_u64_u32 v[12:13], s[6:7], s4, v18, v[12:13]
	v_add_u32_e32 v13, s2, v13
	s_waitcnt vmcnt(0) lgkmcnt(1)
	v_mul_f64 v[16:17], v[6:7], v[2:3]
	v_mul_f64 v[2:3], v[4:5], v[2:3]
	v_fmac_f64_e32 v[16:17], v[4:5], v[0:1]
	v_fma_f64 v[2:3], v[0:1], v[6:7], -v[2:3]
	v_mul_f64 v[0:1], v[16:17], s[0:1]
	v_mul_f64 v[2:3], v[2:3], s[0:1]
	global_store_dwordx4 v[14:15], v[0:3], off
	global_load_dwordx4 v[0:3], v[234:235], off offset:1648
	v_or_b32_e32 v17, 0x76, v232
	;; [unrolled: 28-line block ×4, first 2 shown]
	v_mad_u64_u32 v[14:15], s[6:7], s4, v17, 0
	v_mov_b32_e32 v16, v15
	v_mad_u64_u32 v[16:17], s[6:7], s5, v17, v[16:17]
	v_mov_b32_e32 v15, v16
	v_lshl_add_u64 v[14:15], v[14:15], 4, v[48:49]
	s_waitcnt vmcnt(0) lgkmcnt(0)
	v_mul_f64 v[4:5], v[10:11], v[2:3]
	v_mul_f64 v[2:3], v[8:9], v[2:3]
	v_fmac_f64_e32 v[4:5], v[8:9], v[0:1]
	v_fma_f64 v[2:3], v[0:1], v[10:11], -v[2:3]
	v_mul_f64 v[0:1], v[4:5], s[0:1]
	v_mul_f64 v[2:3], v[2:3], s[0:1]
	global_store_dwordx4 v[12:13], v[0:3], off
	global_load_dwordx4 v[0:3], v[234:235], off offset:2848
	ds_read_b128 v[4:7], v237 offset:2848
	ds_read_b128 v[8:11], v237 offset:3088
	s_waitcnt vmcnt(0) lgkmcnt(1)
	v_mul_f64 v[16:17], v[6:7], v[2:3]
	v_mul_f64 v[2:3], v[4:5], v[2:3]
	v_fmac_f64_e32 v[16:17], v[4:5], v[0:1]
	v_fma_f64 v[2:3], v[0:1], v[6:7], -v[2:3]
	v_mul_f64 v[0:1], v[16:17], s[0:1]
	v_mul_f64 v[2:3], v[2:3], s[0:1]
	global_store_dwordx4 v[14:15], v[0:3], off
	global_load_dwordx4 v[0:3], v[234:235], off offset:3088
	v_mad_u64_u32 v[4:5], s[4:5], s4, v18, v[12:13]
	v_add_u32_e32 v5, s2, v5
	s_waitcnt vmcnt(0) lgkmcnt(0)
	v_mul_f64 v[6:7], v[10:11], v[2:3]
	v_mul_f64 v[2:3], v[8:9], v[2:3]
	v_fmac_f64_e32 v[6:7], v[8:9], v[0:1]
	v_fma_f64 v[2:3], v[0:1], v[10:11], -v[2:3]
	v_mul_f64 v[0:1], v[6:7], s[0:1]
	v_mul_f64 v[2:3], v[2:3], s[0:1]
	global_store_dwordx4 v[4:5], v[0:3], off
.LBB0_15:
	s_endpgm
	.section	.rodata,"a",@progbits
	.p2align	6, 0x0
	.amdhsa_kernel bluestein_single_fwd_len195_dim1_dp_op_CI_CI
		.amdhsa_group_segment_fixed_size 12480
		.amdhsa_private_segment_fixed_size 0
		.amdhsa_kernarg_size 104
		.amdhsa_user_sgpr_count 2
		.amdhsa_user_sgpr_dispatch_ptr 0
		.amdhsa_user_sgpr_queue_ptr 0
		.amdhsa_user_sgpr_kernarg_segment_ptr 1
		.amdhsa_user_sgpr_dispatch_id 0
		.amdhsa_user_sgpr_kernarg_preload_length 0
		.amdhsa_user_sgpr_kernarg_preload_offset 0
		.amdhsa_user_sgpr_private_segment_size 0
		.amdhsa_uses_dynamic_stack 0
		.amdhsa_enable_private_segment 0
		.amdhsa_system_sgpr_workgroup_id_x 1
		.amdhsa_system_sgpr_workgroup_id_y 0
		.amdhsa_system_sgpr_workgroup_id_z 0
		.amdhsa_system_sgpr_workgroup_info 0
		.amdhsa_system_vgpr_workitem_id 0
		.amdhsa_next_free_vgpr 311
		.amdhsa_next_free_sgpr 48
		.amdhsa_accum_offset 256
		.amdhsa_reserve_vcc 1
		.amdhsa_float_round_mode_32 0
		.amdhsa_float_round_mode_16_64 0
		.amdhsa_float_denorm_mode_32 3
		.amdhsa_float_denorm_mode_16_64 3
		.amdhsa_dx10_clamp 1
		.amdhsa_ieee_mode 1
		.amdhsa_fp16_overflow 0
		.amdhsa_tg_split 0
		.amdhsa_exception_fp_ieee_invalid_op 0
		.amdhsa_exception_fp_denorm_src 0
		.amdhsa_exception_fp_ieee_div_zero 0
		.amdhsa_exception_fp_ieee_overflow 0
		.amdhsa_exception_fp_ieee_underflow 0
		.amdhsa_exception_fp_ieee_inexact 0
		.amdhsa_exception_int_div_zero 0
	.end_amdhsa_kernel
	.text
.Lfunc_end0:
	.size	bluestein_single_fwd_len195_dim1_dp_op_CI_CI, .Lfunc_end0-bluestein_single_fwd_len195_dim1_dp_op_CI_CI
                                        ; -- End function
	.section	.AMDGPU.csdata,"",@progbits
; Kernel info:
; codeLenInByte = 27084
; NumSgprs: 54
; NumVgprs: 256
; NumAgprs: 55
; TotalNumVgprs: 311
; ScratchSize: 0
; MemoryBound: 0
; FloatMode: 240
; IeeeMode: 1
; LDSByteSize: 12480 bytes/workgroup (compile time only)
; SGPRBlocks: 6
; VGPRBlocks: 38
; NumSGPRsForWavesPerEU: 54
; NumVGPRsForWavesPerEU: 311
; AccumOffset: 256
; Occupancy: 1
; WaveLimiterHint : 1
; COMPUTE_PGM_RSRC2:SCRATCH_EN: 0
; COMPUTE_PGM_RSRC2:USER_SGPR: 2
; COMPUTE_PGM_RSRC2:TRAP_HANDLER: 0
; COMPUTE_PGM_RSRC2:TGID_X_EN: 1
; COMPUTE_PGM_RSRC2:TGID_Y_EN: 0
; COMPUTE_PGM_RSRC2:TGID_Z_EN: 0
; COMPUTE_PGM_RSRC2:TIDIG_COMP_CNT: 0
; COMPUTE_PGM_RSRC3_GFX90A:ACCUM_OFFSET: 63
; COMPUTE_PGM_RSRC3_GFX90A:TG_SPLIT: 0
	.text
	.p2alignl 6, 3212836864
	.fill 256, 4, 3212836864
	.type	__hip_cuid_86a20b385da63d4b,@object ; @__hip_cuid_86a20b385da63d4b
	.section	.bss,"aw",@nobits
	.globl	__hip_cuid_86a20b385da63d4b
__hip_cuid_86a20b385da63d4b:
	.byte	0                               ; 0x0
	.size	__hip_cuid_86a20b385da63d4b, 1

	.ident	"AMD clang version 19.0.0git (https://github.com/RadeonOpenCompute/llvm-project roc-6.4.0 25133 c7fe45cf4b819c5991fe208aaa96edf142730f1d)"
	.section	".note.GNU-stack","",@progbits
	.addrsig
	.addrsig_sym __hip_cuid_86a20b385da63d4b
	.amdgpu_metadata
---
amdhsa.kernels:
  - .agpr_count:     55
    .args:
      - .actual_access:  read_only
        .address_space:  global
        .offset:         0
        .size:           8
        .value_kind:     global_buffer
      - .actual_access:  read_only
        .address_space:  global
        .offset:         8
        .size:           8
        .value_kind:     global_buffer
      - .actual_access:  read_only
        .address_space:  global
        .offset:         16
        .size:           8
        .value_kind:     global_buffer
      - .actual_access:  read_only
        .address_space:  global
        .offset:         24
        .size:           8
        .value_kind:     global_buffer
      - .actual_access:  read_only
        .address_space:  global
        .offset:         32
        .size:           8
        .value_kind:     global_buffer
      - .offset:         40
        .size:           8
        .value_kind:     by_value
      - .address_space:  global
        .offset:         48
        .size:           8
        .value_kind:     global_buffer
      - .address_space:  global
        .offset:         56
        .size:           8
        .value_kind:     global_buffer
      - .address_space:  global
        .offset:         64
        .size:           8
        .value_kind:     global_buffer
      - .address_space:  global
        .offset:         72
        .size:           8
        .value_kind:     global_buffer
      - .offset:         80
        .size:           4
        .value_kind:     by_value
      - .address_space:  global
        .offset:         88
        .size:           8
        .value_kind:     global_buffer
      - .address_space:  global
        .offset:         96
        .size:           8
        .value_kind:     global_buffer
    .group_segment_fixed_size: 12480
    .kernarg_segment_align: 8
    .kernarg_segment_size: 104
    .language:       OpenCL C
    .language_version:
      - 2
      - 0
    .max_flat_workgroup_size: 52
    .name:           bluestein_single_fwd_len195_dim1_dp_op_CI_CI
    .private_segment_fixed_size: 0
    .sgpr_count:     54
    .sgpr_spill_count: 0
    .symbol:         bluestein_single_fwd_len195_dim1_dp_op_CI_CI.kd
    .uniform_work_group_size: 1
    .uses_dynamic_stack: false
    .vgpr_count:     311
    .vgpr_spill_count: 0
    .wavefront_size: 64
amdhsa.target:   amdgcn-amd-amdhsa--gfx950
amdhsa.version:
  - 1
  - 2
...

	.end_amdgpu_metadata
